;; amdgpu-corpus repo=ROCm/vllm kind=compiled arch=gfx90a opt=O3
	.text
	.amdgcn_target "amdgcn-amd-amdhsa--gfx90a"
	.amdhsa_code_object_version 6
	.section	.text._ZN4vllm31static_scaled_int8_quant_kernelIffEEvPKT_PaPKT0_i,"axG",@progbits,_ZN4vllm31static_scaled_int8_quant_kernelIffEEvPKT_PaPKT0_i,comdat
	.protected	_ZN4vllm31static_scaled_int8_quant_kernelIffEEvPKT_PaPKT0_i ; -- Begin function _ZN4vllm31static_scaled_int8_quant_kernelIffEEvPKT_PaPKT0_i
	.globl	_ZN4vllm31static_scaled_int8_quant_kernelIffEEvPKT_PaPKT0_i
	.p2align	8
	.type	_ZN4vllm31static_scaled_int8_quant_kernelIffEEvPKT_PaPKT0_i,@function
_ZN4vllm31static_scaled_int8_quant_kernelIffEEvPKT_PaPKT0_i: ; @_ZN4vllm31static_scaled_int8_quant_kernelIffEEvPKT_PaPKT0_i
; %bb.0:
	s_load_dword s22, s[4:5], 0x18
	s_load_dword s2, s[4:5], 0x2c
	s_load_dwordx2 s[0:1], s[4:5], 0x10
	s_load_dwordx4 s[8:11], s[4:5], 0x0
	s_waitcnt lgkmcnt(0)
	s_ashr_i32 s3, s22, 31
	s_mul_i32 s3, s3, s6
	s_load_dword s21, s[0:1], 0x0
	s_mul_hi_u32 s0, s22, s6
	s_add_i32 s5, s0, s3
	s_mul_i32 s4, s22, s6
	s_and_b32 s20, s2, 0xffff
	s_lshl_b64 s[2:3], s[4:5], 2
	s_add_u32 s23, s8, s2
	s_addc_u32 s24, s9, s3
	s_and_b32 s0, s23, 63
	s_mov_b32 s1, 0
	s_cmp_lg_u64 s[0:1], 0
	s_cselect_b64 s[0:1], -1, 0
	s_and_b32 s6, s22, 15
	s_cmp_lg_u32 s6, 0
	s_cselect_b64 s[6:7], -1, 0
	s_or_b64 s[6:7], s[6:7], s[0:1]
	s_mov_b64 s[0:1], -1
	s_and_b64 vcc, exec, s[6:7]
	s_cbranch_vccz .LBB0_21
; %bb.1:
	s_add_u32 s12, s10, s4
	s_addc_u32 s13, s11, s5
	s_sub_i32 s0, 0, s23
	v_cvt_f32_u32_e32 v1, s20
	s_bfe_u32 s0, s0, 0x40002
	s_min_i32 s6, s0, s22
	v_cmp_gt_i32_e32 vcc, s6, v0
	s_and_saveexec_b64 s[14:15], vcc
	s_cbranch_execz .LBB0_9
; %bb.2:
	v_rcp_iflag_f32_e32 v2, v1
	v_add_u32_e32 v3, s20, v0
	v_mov_b32_e32 v4, s20
	v_cmp_gt_i32_e32 vcc, s6, v3
	v_mul_f32_e32 v2, 0x4f7ffffe, v2
	v_cvt_u32_f32_e32 v2, v2
	v_max_i32_e32 v5, s6, v3
	v_addc_co_u32_e64 v3, s[0:1], v0, v4, vcc
	s_sub_i32 s0, 0, s20
	v_mul_lo_u32 v4, s0, v2
	v_mul_hi_u32 v4, v2, v4
	v_sub_u32_e32 v3, v5, v3
	v_add_u32_e32 v2, v2, v4
	v_mul_hi_u32 v2, v3, v2
	v_mul_lo_u32 v4, v2, s20
	v_sub_u32_e32 v3, v3, v4
	v_add_u32_e32 v4, 1, v2
	v_cmp_le_u32_e64 s[0:1], s20, v3
	v_cndmask_b32_e64 v2, v2, v4, s[0:1]
	v_subrev_u32_e32 v4, s20, v3
	v_cndmask_b32_e64 v3, v3, v4, s[0:1]
	v_add_u32_e32 v4, 1, v2
	v_cmp_le_u32_e64 s[0:1], s20, v3
	v_cndmask_b32_e64 v2, v2, v4, s[0:1]
	v_addc_co_u32_e32 v4, vcc, 1, v2, vcc
	s_cmp_eq_u32 s20, 1
	v_cmp_lt_u32_e32 vcc, 1, v4
	s_cselect_b64 s[0:1], -1, 0
	s_and_b64 s[18:19], vcc, s[0:1]
	s_mov_b64 s[0:1], -1
	v_mov_b32_e32 v2, v0
	s_and_saveexec_b64 s[16:17], s[18:19]
	s_cbranch_execz .LBB0_6
; %bb.3:
	v_and_b32_e32 v5, -2, v4
	s_waitcnt lgkmcnt(0)
	s_mov_b32 s7, s21
	s_mov_b64 s[18:19], 0
	v_mov_b32_e32 v3, 0
	v_mov_b32_e32 v6, s24
	s_mov_b32 s25, 0x42fe0000
	v_mov_b32_e32 v7, 0x42fe0000
	s_mov_b32 s26, 0xc3000000
	v_mov_b32_e32 v8, 0xc3000000
	v_mov_b32_e32 v2, v0
	;; [unrolled: 1-line block ×3, first 2 shown]
.LBB0_4:                                ; =>This Inner Loop Header: Depth=1
	v_lshlrev_b64 v[10:11], 2, v[2:3]
	v_add_co_u32_e32 v10, vcc, s23, v10
	v_addc_co_u32_e32 v11, vcc, v6, v11, vcc
	global_load_dwordx2 v[10:11], v[10:11], off
	v_add_u32_e32 v9, -2, v9
	s_waitcnt vmcnt(0)
	v_div_scale_f32 v12, s[0:1], s7, s7, v11
	v_div_scale_f32 v14, s[0:1], s21, s21, v10
	v_rcp_f32_e32 v15, v12
	v_rcp_f32_e32 v16, v14
	v_div_scale_f32 v13, vcc, v11, s7, v11
	v_fma_f32 v18, -v12, v15, 1.0
	v_fma_f32 v19, -v14, v16, 1.0
	v_fmac_f32_e32 v15, v18, v15
	v_div_scale_f32 v17, s[0:1], v10, s21, v10
	v_fmac_f32_e32 v16, v19, v16
	v_mul_f32_e32 v18, v13, v15
	v_mul_f32_e32 v19, v17, v16
	v_fma_f32 v20, -v12, v18, v13
	v_fma_f32 v21, -v14, v19, v17
	v_fmac_f32_e32 v18, v20, v15
	v_fmac_f32_e32 v19, v21, v16
	v_fma_f32 v12, -v12, v18, v13
	v_fma_f32 v13, -v14, v19, v17
	v_div_fmas_f32 v12, v12, v15, v18
	s_mov_b64 vcc, s[0:1]
	v_div_fixup_f32 v11, v12, s7, v11
	v_div_fmas_f32 v12, v13, v16, v19
	v_div_fixup_f32 v10, v12, s21, v10
	v_rndne_f32_e32 v11, v11
	v_rndne_f32_e32 v10, v10
	v_cmp_nlt_f32_e32 vcc, s25, v11
	v_cndmask_b32_e32 v12, v7, v11, vcc
	v_cmp_nlt_f32_e32 vcc, s25, v10
	v_cndmask_b32_e32 v13, v7, v10, vcc
	v_cmp_ngt_f32_e32 vcc, s26, v11
	v_cndmask_b32_e32 v11, v8, v12, vcc
	v_cmp_ngt_f32_e32 vcc, s26, v10
	v_cndmask_b32_e32 v10, v8, v13, vcc
	v_cvt_i32_f32_sdwa v11, v11 dst_sel:BYTE_1 dst_unused:UNUSED_PAD src0_sel:DWORD
	v_cvt_i32_f32_e32 v10, v10
	v_cmp_eq_u32_e32 vcc, 0, v9
	s_or_b64 s[18:19], vcc, s[18:19]
	v_or_b32_sdwa v10, v10, v11 dst_sel:DWORD dst_unused:UNUSED_PAD src0_sel:BYTE_0 src1_sel:DWORD
	global_store_short v2, v10, s[12:13]
	v_add_u32_e32 v2, 2, v2
	s_andn2_b64 exec, exec, s[18:19]
	s_cbranch_execnz .LBB0_4
; %bb.5:
	s_or_b64 exec, exec, s[18:19]
	v_cmp_ne_u32_e32 vcc, v4, v5
	v_add_u32_e32 v2, v0, v5
	s_orn2_b64 s[0:1], vcc, exec
.LBB0_6:
	s_or_b64 exec, exec, s[16:17]
	s_and_b64 exec, exec, s[0:1]
	s_cbranch_execz .LBB0_9
; %bb.7:
	v_mov_b32_e32 v3, 0
	s_add_u32 s1, s8, s2
	v_lshlrev_b64 v[4:5], 2, v[2:3]
	s_addc_u32 s7, s9, s3
	s_mov_b32 s0, 0
	v_mov_b32_e32 v6, s7
	v_add_co_u32_e32 v4, vcc, s1, v4
	v_addc_co_u32_e32 v5, vcc, v6, v5, vcc
	s_lshl_b32 s7, s20, 2
	s_mov_b64 s[16:17], 0
	v_mov_b32_e32 v6, s13
	s_mov_b32 s18, 0x42fe0000
	v_mov_b32_e32 v7, 0x42fe0000
	s_mov_b32 s19, 0xc3000000
	v_mov_b32_e32 v8, 0xc3000000
	v_mov_b32_e32 v9, s0
	;; [unrolled: 1-line block ×3, first 2 shown]
.LBB0_8:                                ; =>This Inner Loop Header: Depth=1
	global_load_dword v11, v[4:5], off
	v_add_co_u32_e32 v12, vcc, s12, v2
	v_addc_co_u32_e32 v13, vcc, v6, v3, vcc
	v_add_co_u32_e32 v2, vcc, s20, v2
	v_addc_co_u32_e32 v3, vcc, v3, v9, vcc
	v_add_co_u32_e64 v4, s[0:1], s7, v4
	s_waitcnt vmcnt(0) lgkmcnt(0)
	v_div_scale_f32 v14, s[26:27], s21, s21, v11
	v_rcp_f32_e32 v16, v14
	v_div_scale_f32 v15, vcc, v11, s21, v11
	v_fma_f32 v17, -v14, v16, 1.0
	v_fmac_f32_e32 v16, v17, v16
	v_mul_f32_e32 v17, v15, v16
	v_fma_f32 v18, -v14, v17, v15
	v_fmac_f32_e32 v17, v18, v16
	v_fma_f32 v14, -v14, v17, v15
	v_div_fmas_f32 v14, v14, v16, v17
	v_div_fixup_f32 v11, v14, s21, v11
	v_rndne_f32_e32 v11, v11
	v_cmp_nlt_f32_e32 vcc, s18, v11
	v_cndmask_b32_e32 v14, v7, v11, vcc
	v_cmp_ngt_f32_e32 vcc, s19, v11
	v_cndmask_b32_e32 v11, v8, v14, vcc
	v_cvt_i32_f32_e32 v11, v11
	v_addc_co_u32_e64 v5, vcc, v5, v10, s[0:1]
	v_cmp_le_i32_e32 vcc, s6, v2
	s_or_b64 s[16:17], vcc, s[16:17]
	global_store_byte v[12:13], v11, off
	s_andn2_b64 exec, exec, s[16:17]
	s_cbranch_execnz .LBB0_8
.LBB0_9:
	s_or_b64 exec, exec, s[14:15]
	s_sub_i32 s18, s22, s6
	s_ashr_i32 s0, s18, 31
	s_lshr_b32 s0, s0, 28
	s_add_i32 s0, s18, s0
	s_ashr_i32 s16, s0, 4
	s_ashr_i32 s7, s6, 31
	v_cmp_gt_i32_e32 vcc, s16, v0
	s_and_saveexec_b64 s[0:1], vcc
	s_cbranch_execz .LBB0_12
; %bb.10:
	s_add_u32 s14, s6, s4
	s_addc_u32 s15, s7, s5
	s_add_u32 s14, s10, s14
	v_lshlrev_b32_e32 v2, 4, v0
	s_addc_u32 s15, s11, s15
	v_mov_b32_e32 v3, s15
	v_add_co_u32_e32 v18, vcc, s14, v2
	s_lshl_b32 s17, s20, 4
	s_lshl_b64 s[14:15], s[6:7], 2
	s_add_u32 s14, s8, s14
	s_addc_u32 s15, s9, s15
	s_add_u32 s14, s14, s2
	v_addc_co_u32_e32 v19, vcc, 0, v3, vcc
	v_lshlrev_b32_e32 v2, 6, v0
	s_addc_u32 s15, s15, s3
	s_mov_b32 s27, 0
	v_mov_b32_e32 v3, s15
	v_add_co_u32_e32 v20, vcc, s14, v2
	v_addc_co_u32_e32 v21, vcc, 0, v3, vcc
	s_lshl_b32 s19, s20, 6
	s_mov_b64 s[14:15], 0
	s_mov_b32 s25, 0x42fe0000
	v_mov_b32_e32 v22, 0x42fe0000
	s_mov_b32 s26, 0xc3000000
	v_mov_b32_e32 v23, 0xc3000000
	v_mov_b32_e32 v24, s27
	;; [unrolled: 1-line block ×4, first 2 shown]
.LBB0_11:                               ; =>This Inner Loop Header: Depth=1
	global_load_dwordx4 v[2:5], v[20:21], off offset:48
	global_load_dwordx4 v[6:9], v[20:21], off offset:32
	;; [unrolled: 1-line block ×3, first 2 shown]
	global_load_dwordx4 v[14:17], v[20:21], off
	v_add_u32_e32 v26, s20, v26
	s_waitcnt vmcnt(0) lgkmcnt(0)
	v_div_scale_f32 v27, s[28:29], s21, s21, v14
	v_rcp_f32_e32 v28, v27
	v_fma_f32 v29, -v27, v28, 1.0
	v_fmac_f32_e32 v28, v29, v28
	v_div_scale_f32 v29, vcc, v14, s21, v14
	v_mul_f32_e32 v30, v29, v28
	v_fma_f32 v31, -v27, v30, v29
	v_fmac_f32_e32 v30, v31, v28
	v_fma_f32 v27, -v27, v30, v29
	v_div_fmas_f32 v27, v27, v28, v30
	v_div_fixup_f32 v14, v27, s21, v14
	v_rndne_f32_e32 v14, v14
	v_cmp_nlt_f32_e32 vcc, s25, v14
	v_cndmask_b32_e32 v27, v22, v14, vcc
	v_cmp_ngt_f32_e32 vcc, s26, v14
	v_cndmask_b32_e32 v14, v23, v27, vcc
	v_div_scale_f32 v27, s[28:29], s21, s21, v15
	v_rcp_f32_e32 v28, v27
	v_cvt_i32_f32_e32 v14, v14
	v_fma_f32 v29, -v27, v28, 1.0
	v_fmac_f32_e32 v28, v29, v28
	v_div_scale_f32 v29, vcc, v15, s21, v15
	v_mul_f32_e32 v30, v29, v28
	v_fma_f32 v31, -v27, v30, v29
	v_fmac_f32_e32 v30, v31, v28
	v_fma_f32 v27, -v27, v30, v29
	v_div_fmas_f32 v27, v27, v28, v30
	v_div_fixup_f32 v15, v27, s21, v15
	v_rndne_f32_e32 v15, v15
	v_cmp_nlt_f32_e32 vcc, s25, v15
	v_cndmask_b32_e32 v27, v22, v15, vcc
	v_cmp_ngt_f32_e32 vcc, s26, v15
	v_cndmask_b32_e32 v15, v23, v27, vcc
	v_div_scale_f32 v27, s[28:29], s21, s21, v16
	v_rcp_f32_e32 v28, v27
	v_cvt_i32_f32_sdwa v15, v15 dst_sel:BYTE_1 dst_unused:UNUSED_PAD src0_sel:DWORD
	v_fma_f32 v29, -v27, v28, 1.0
	v_fmac_f32_e32 v28, v29, v28
	v_div_scale_f32 v29, vcc, v16, s21, v16
	v_mul_f32_e32 v30, v29, v28
	v_fma_f32 v31, -v27, v30, v29
	v_fmac_f32_e32 v30, v31, v28
	v_fma_f32 v27, -v27, v30, v29
	v_div_fmas_f32 v27, v27, v28, v30
	v_div_fixup_f32 v16, v27, s21, v16
	v_rndne_f32_e32 v16, v16
	v_cmp_nlt_f32_e32 vcc, s25, v16
	v_cndmask_b32_e32 v27, v22, v16, vcc
	v_cmp_ngt_f32_e32 vcc, s26, v16
	v_cndmask_b32_e32 v16, v23, v27, vcc
	v_div_scale_f32 v27, s[28:29], s21, s21, v17
	v_rcp_f32_e32 v28, v27
	v_cvt_i32_f32_e32 v16, v16
	v_fma_f32 v29, -v27, v28, 1.0
	v_fmac_f32_e32 v28, v29, v28
	v_div_scale_f32 v29, vcc, v17, s21, v17
	v_mul_f32_e32 v30, v29, v28
	v_fma_f32 v31, -v27, v30, v29
	v_fmac_f32_e32 v30, v31, v28
	v_fma_f32 v27, -v27, v30, v29
	v_div_fmas_f32 v27, v27, v28, v30
	v_div_fixup_f32 v17, v27, s21, v17
	v_rndne_f32_e32 v17, v17
	v_cmp_nlt_f32_e32 vcc, s25, v17
	v_cndmask_b32_e32 v27, v22, v17, vcc
	v_cmp_ngt_f32_e32 vcc, s26, v17
	v_cndmask_b32_e32 v17, v23, v27, vcc
	v_div_scale_f32 v27, s[28:29], s21, s21, v10
	v_rcp_f32_e32 v28, v27
	v_cvt_i32_f32_sdwa v17, v17 dst_sel:BYTE_1 dst_unused:UNUSED_PAD src0_sel:DWORD
	;; [unrolled: 34-line block ×7, first 2 shown]
	v_fma_f32 v29, -v27, v28, 1.0
	v_fmac_f32_e32 v28, v29, v28
	v_div_scale_f32 v29, vcc, v4, s21, v4
	v_mul_f32_e32 v30, v29, v28
	v_fma_f32 v31, -v27, v30, v29
	v_fmac_f32_e32 v30, v31, v28
	v_fma_f32 v27, -v27, v30, v29
	v_div_fmas_f32 v27, v27, v28, v30
	v_div_fixup_f32 v4, v27, s21, v4
	v_rndne_f32_e32 v4, v4
	v_cmp_nlt_f32_e32 vcc, s25, v4
	v_cndmask_b32_e32 v27, v22, v4, vcc
	v_cmp_ngt_f32_e32 vcc, s26, v4
	v_cndmask_b32_e32 v4, v23, v27, vcc
	v_div_scale_f32 v27, s[28:29], s21, s21, v5
	v_rcp_f32_e32 v28, v27
	v_cvt_i32_f32_e32 v4, v4
	v_or_b32_sdwa v2, v2, v3 dst_sel:DWORD dst_unused:UNUSED_PAD src0_sel:BYTE_0 src1_sel:DWORD
	v_fma_f32 v29, -v27, v28, 1.0
	v_fmac_f32_e32 v28, v29, v28
	v_div_scale_f32 v29, vcc, v5, s21, v5
	v_mul_f32_e32 v30, v29, v28
	v_fma_f32 v31, -v27, v30, v29
	v_fmac_f32_e32 v30, v31, v28
	v_fma_f32 v27, -v27, v30, v29
	v_div_fmas_f32 v27, v27, v28, v30
	v_div_fixup_f32 v5, v27, s21, v5
	v_rndne_f32_e32 v5, v5
	v_cmp_nlt_f32_e32 vcc, s25, v5
	v_cndmask_b32_e32 v27, v22, v5, vcc
	v_cmp_ngt_f32_e32 vcc, s26, v5
	v_cndmask_b32_e32 v5, v23, v27, vcc
	v_cvt_i32_f32_sdwa v5, v5 dst_sel:BYTE_1 dst_unused:UNUSED_PAD src0_sel:DWORD
	v_or_b32_sdwa v3, v4, v5 dst_sel:WORD_1 dst_unused:UNUSED_PAD src0_sel:BYTE_0 src1_sel:DWORD
	v_or_b32_sdwa v5, v2, v3 dst_sel:DWORD dst_unused:UNUSED_PAD src0_sel:WORD_0 src1_sel:DWORD
	v_or_b32_sdwa v2, v6, v7 dst_sel:DWORD dst_unused:UNUSED_PAD src0_sel:BYTE_0 src1_sel:DWORD
	v_or_b32_sdwa v3, v8, v9 dst_sel:WORD_1 dst_unused:UNUSED_PAD src0_sel:BYTE_0 src1_sel:DWORD
	v_or_b32_sdwa v4, v2, v3 dst_sel:DWORD dst_unused:UNUSED_PAD src0_sel:WORD_0 src1_sel:DWORD
	v_or_b32_sdwa v2, v10, v11 dst_sel:DWORD dst_unused:UNUSED_PAD src0_sel:BYTE_0 src1_sel:DWORD
	v_or_b32_sdwa v3, v12, v13 dst_sel:WORD_1 dst_unused:UNUSED_PAD src0_sel:BYTE_0 src1_sel:DWORD
	v_or_b32_sdwa v3, v2, v3 dst_sel:DWORD dst_unused:UNUSED_PAD src0_sel:WORD_0 src1_sel:DWORD
	v_or_b32_sdwa v2, v14, v15 dst_sel:DWORD dst_unused:UNUSED_PAD src0_sel:BYTE_0 src1_sel:DWORD
	v_or_b32_sdwa v6, v16, v17 dst_sel:WORD_1 dst_unused:UNUSED_PAD src0_sel:BYTE_0 src1_sel:DWORD
	v_or_b32_sdwa v2, v2, v6 dst_sel:DWORD dst_unused:UNUSED_PAD src0_sel:WORD_0 src1_sel:DWORD
	global_store_dwordx4 v[18:19], v[2:5], off
	v_add_co_u32_e32 v18, vcc, s17, v18
	v_addc_co_u32_e32 v19, vcc, v19, v24, vcc
	v_add_co_u32_e32 v20, vcc, s19, v20
	v_addc_co_u32_e32 v21, vcc, v21, v25, vcc
	v_cmp_le_i32_e32 vcc, s16, v26
	s_or_b64 s[14:15], vcc, s[14:15]
	s_andn2_b64 exec, exec, s[14:15]
	s_cbranch_execnz .LBB0_11
.LBB0_12:
	s_or_b64 exec, exec, s[0:1]
	v_lshl_add_u32 v2, s16, 4, v0
	v_cmp_gt_i32_e32 vcc, s18, v2
	s_and_saveexec_b64 s[14:15], vcc
	s_cbranch_execz .LBB0_20
; %bb.13:
	v_rcp_iflag_f32_e32 v1, v1
	v_add_u32_e32 v3, s20, v2
	v_mov_b32_e32 v5, s20
	v_cmp_gt_i32_e32 vcc, s18, v3
	v_mul_f32_e32 v1, 0x4f7ffffe, v1
	v_cvt_u32_f32_e32 v1, v1
	s_add_u32 s19, s12, s6
	v_max_i32_e32 v4, s18, v3
	v_addc_co_u32_e64 v3, s[0:1], v2, v5, vcc
	s_addc_u32 s25, s13, s7
	s_sub_i32 s0, 0, s20
	v_sub_u32_e32 v3, v4, v3
	v_mul_lo_u32 v4, s0, v1
	v_mul_hi_u32 v4, v1, v4
	v_add_u32_e32 v1, v1, v4
	v_mul_hi_u32 v1, v3, v1
	v_mul_lo_u32 v4, v1, s20
	v_sub_u32_e32 v3, v3, v4
	v_add_u32_e32 v4, 1, v1
	v_cmp_le_u32_e64 s[0:1], s20, v3
	v_cndmask_b32_e64 v1, v1, v4, s[0:1]
	v_subrev_u32_e32 v4, s20, v3
	v_cndmask_b32_e64 v3, v3, v4, s[0:1]
	v_add_u32_e32 v4, 1, v1
	v_cmp_le_u32_e64 s[0:1], s20, v3
	v_cndmask_b32_e64 v1, v1, v4, s[0:1]
	v_addc_co_u32_e32 v1, vcc, 1, v1, vcc
	s_cmp_eq_u32 s20, 1
	v_cmp_lt_u32_e32 vcc, 1, v1
	s_cselect_b64 s[0:1], -1, 0
	s_and_b64 s[16:17], vcc, s[0:1]
	s_mov_b64 s[0:1], -1
	s_and_saveexec_b64 s[12:13], s[16:17]
	s_cbranch_execz .LBB0_17
; %bb.14:
	s_lshl_b64 s[0:1], s[6:7], 2
	s_add_u32 s23, s23, s0
	s_addc_u32 s0, s24, s1
	v_and_b32_e32 v3, -2, v1
	s_waitcnt lgkmcnt(0)
	s_mov_b32 s24, s21
	s_mov_b64 s[16:17], 0
	v_mov_b32_e32 v6, s25
	v_mov_b32_e32 v7, s0
	s_mov_b32 s26, 0x42fe0000
	v_mov_b32_e32 v8, 0x42fe0000
	s_mov_b32 s27, 0xc3000000
	v_mov_b32_e32 v9, 0xc3000000
	v_mov_b32_e32 v4, v2
	v_mov_b32_e32 v10, v3
.LBB0_15:                               ; =>This Inner Loop Header: Depth=1
	v_ashrrev_i32_e32 v5, 31, v4
	v_lshlrev_b64 v[12:13], 2, v[4:5]
	v_add_co_u32_e32 v12, vcc, s23, v12
	v_addc_co_u32_e32 v13, vcc, v7, v13, vcc
	global_load_dwordx2 v[12:13], v[12:13], off
	v_add_u32_e32 v10, -2, v10
	s_waitcnt vmcnt(0)
	v_div_scale_f32 v11, s[0:1], s24, s24, v13
	v_div_scale_f32 v15, s[0:1], s21, s21, v12
	v_rcp_f32_e32 v16, v11
	v_rcp_f32_e32 v17, v15
	v_div_scale_f32 v14, vcc, v13, s24, v13
	v_fma_f32 v19, -v11, v16, 1.0
	v_fma_f32 v20, -v15, v17, 1.0
	v_fmac_f32_e32 v16, v19, v16
	v_div_scale_f32 v18, s[0:1], v12, s21, v12
	v_fmac_f32_e32 v17, v20, v17
	v_mul_f32_e32 v19, v14, v16
	v_mul_f32_e32 v20, v18, v17
	v_fma_f32 v21, -v11, v19, v14
	v_fma_f32 v22, -v15, v20, v18
	v_fmac_f32_e32 v19, v21, v16
	v_fmac_f32_e32 v20, v22, v17
	v_fma_f32 v11, -v11, v19, v14
	v_fma_f32 v14, -v15, v20, v18
	v_div_fmas_f32 v11, v11, v16, v19
	s_mov_b64 vcc, s[0:1]
	v_div_fixup_f32 v11, v11, s24, v13
	v_div_fmas_f32 v13, v14, v17, v20
	v_div_fixup_f32 v12, v13, s21, v12
	v_rndne_f32_e32 v11, v11
	v_rndne_f32_e32 v12, v12
	v_cmp_nlt_f32_e32 vcc, s26, v11
	v_cndmask_b32_e32 v13, v8, v11, vcc
	v_cmp_nlt_f32_e32 vcc, s26, v12
	v_cndmask_b32_e32 v14, v8, v12, vcc
	v_cmp_ngt_f32_e32 vcc, s27, v11
	v_cndmask_b32_e32 v11, v9, v13, vcc
	v_cmp_ngt_f32_e32 vcc, s27, v12
	v_cndmask_b32_e32 v12, v9, v14, vcc
	v_cvt_i32_f32_sdwa v11, v11 dst_sel:BYTE_1 dst_unused:UNUSED_PAD src0_sel:DWORD
	v_cvt_i32_f32_e32 v14, v12
	v_add_co_u32_e32 v12, vcc, s19, v4
	v_addc_co_u32_e32 v13, vcc, v6, v5, vcc
	v_cmp_eq_u32_e32 vcc, 0, v10
	s_or_b64 s[16:17], vcc, s[16:17]
	v_or_b32_sdwa v5, v14, v11 dst_sel:DWORD dst_unused:UNUSED_PAD src0_sel:BYTE_0 src1_sel:DWORD
	v_add_u32_e32 v4, 2, v4
	global_store_short v[12:13], v5, off
	s_andn2_b64 exec, exec, s[16:17]
	s_cbranch_execnz .LBB0_15
; %bb.16:
	s_or_b64 exec, exec, s[16:17]
	v_cmp_ne_u32_e32 vcc, v1, v3
	v_add_u32_e32 v2, v2, v3
	s_orn2_b64 s[0:1], vcc, exec
.LBB0_17:
	s_or_b64 exec, exec, s[12:13]
	s_and_b64 exec, exec, s[0:1]
	s_cbranch_execz .LBB0_20
; %bb.18:
	s_lshl_b64 s[0:1], s[6:7], 2
	s_add_u32 s0, s2, s0
	s_addc_u32 s1, s3, s1
	v_ashrrev_i32_e32 v3, 31, v2
	s_add_u32 s0, s8, s0
	v_lshlrev_b64 v[4:5], 2, v[2:3]
	s_addc_u32 s1, s9, s1
	s_mov_b32 s17, 0
	v_mov_b32_e32 v1, s1
	v_add_co_u32_e32 v4, vcc, s0, v4
	v_addc_co_u32_e32 v5, vcc, v1, v5, vcc
	s_lshl_b32 s12, s20, 2
	s_mov_b64 s[6:7], 0
	v_mov_b32_e32 v1, s25
	s_mov_b32 s13, 0x42fe0000
	v_mov_b32_e32 v6, 0x42fe0000
	s_mov_b32 s16, 0xc3000000
	v_mov_b32_e32 v7, 0xc3000000
	v_mov_b32_e32 v8, s17
	;; [unrolled: 1-line block ×3, first 2 shown]
.LBB0_19:                               ; =>This Inner Loop Header: Depth=1
	global_load_dword v12, v[4:5], off
	v_add_co_u32_e32 v10, vcc, s19, v2
	v_addc_co_u32_e32 v11, vcc, v1, v3, vcc
	v_add_co_u32_e32 v2, vcc, s20, v2
	v_addc_co_u32_e32 v3, vcc, v3, v8, vcc
	v_add_co_u32_e64 v4, s[0:1], s12, v4
	s_waitcnt vmcnt(0) lgkmcnt(0)
	v_div_scale_f32 v13, s[24:25], s21, s21, v12
	v_rcp_f32_e32 v15, v13
	v_div_scale_f32 v14, vcc, v12, s21, v12
	v_fma_f32 v16, -v13, v15, 1.0
	v_fmac_f32_e32 v15, v16, v15
	v_mul_f32_e32 v16, v14, v15
	v_fma_f32 v17, -v13, v16, v14
	v_fmac_f32_e32 v16, v17, v15
	v_fma_f32 v13, -v13, v16, v14
	v_div_fmas_f32 v13, v13, v15, v16
	v_div_fixup_f32 v12, v13, s21, v12
	v_rndne_f32_e32 v12, v12
	v_cmp_nlt_f32_e32 vcc, s13, v12
	v_cndmask_b32_e32 v13, v6, v12, vcc
	v_cmp_ngt_f32_e32 vcc, s16, v12
	v_cndmask_b32_e32 v12, v7, v13, vcc
	v_cvt_i32_f32_e32 v12, v12
	v_addc_co_u32_e64 v5, vcc, v5, v9, s[0:1]
	v_cmp_le_i32_e32 vcc, s18, v2
	s_or_b64 s[6:7], vcc, s[6:7]
	global_store_byte v[10:11], v12, off
	s_andn2_b64 exec, exec, s[6:7]
	s_cbranch_execnz .LBB0_19
.LBB0_20:
	s_or_b64 exec, exec, s[14:15]
	s_mov_b64 s[0:1], 0
.LBB0_21:
	s_and_b64 vcc, exec, s[0:1]
	s_cbranch_vccz .LBB0_25
; %bb.22:
	s_ashr_i32 s6, s22, 4
	v_cmp_gt_i32_e32 vcc, s6, v0
	s_and_saveexec_b64 s[0:1], vcc
	s_cbranch_execz .LBB0_25
; %bb.23:
	s_add_u32 s0, s10, s4
	v_lshlrev_b32_e32 v1, 4, v0
	s_addc_u32 s1, s11, s5
	s_lshl_b32 s4, s20, 4
	v_mov_b32_e32 v2, s1
	v_add_co_u32_e32 v18, vcc, s0, v1
	s_add_u32 s0, s8, s2
	v_addc_co_u32_e32 v19, vcc, 0, v2, vcc
	v_lshlrev_b32_e32 v1, 6, v0
	s_addc_u32 s1, s9, s3
	s_mov_b32 s7, 0
	v_mov_b32_e32 v2, s1
	v_add_co_u32_e32 v20, vcc, s0, v1
	v_addc_co_u32_e32 v21, vcc, 0, v2, vcc
	s_lshl_b32 s2, s20, 6
	s_mov_b64 s[0:1], 0
	s_mov_b32 s3, 0x42fe0000
	v_mov_b32_e32 v1, 0x42fe0000
	s_mov_b32 s5, 0xc3000000
	v_mov_b32_e32 v22, 0xc3000000
	v_mov_b32_e32 v23, s7
	;; [unrolled: 1-line block ×3, first 2 shown]
.LBB0_24:                               ; =>This Inner Loop Header: Depth=1
	global_load_dwordx4 v[2:5], v[20:21], off offset:48
	global_load_dwordx4 v[6:9], v[20:21], off offset:32
	;; [unrolled: 1-line block ×3, first 2 shown]
	global_load_dwordx4 v[14:17], v[20:21], off
	v_add_u32_e32 v0, s20, v0
	s_waitcnt vmcnt(0) lgkmcnt(0)
	v_div_scale_f32 v25, s[8:9], s21, s21, v14
	v_rcp_f32_e32 v26, v25
	v_fma_f32 v27, -v25, v26, 1.0
	v_fmac_f32_e32 v26, v27, v26
	v_div_scale_f32 v27, vcc, v14, s21, v14
	v_mul_f32_e32 v28, v27, v26
	v_fma_f32 v29, -v25, v28, v27
	v_fmac_f32_e32 v28, v29, v26
	v_fma_f32 v25, -v25, v28, v27
	v_div_fmas_f32 v25, v25, v26, v28
	v_div_fixup_f32 v14, v25, s21, v14
	v_rndne_f32_e32 v14, v14
	v_cmp_nlt_f32_e32 vcc, s3, v14
	v_cndmask_b32_e32 v25, v1, v14, vcc
	v_cmp_ngt_f32_e32 vcc, s5, v14
	v_cndmask_b32_e32 v14, v22, v25, vcc
	v_div_scale_f32 v25, s[8:9], s21, s21, v15
	v_rcp_f32_e32 v26, v25
	v_cvt_i32_f32_e32 v14, v14
	v_fma_f32 v27, -v25, v26, 1.0
	v_fmac_f32_e32 v26, v27, v26
	v_div_scale_f32 v27, vcc, v15, s21, v15
	v_mul_f32_e32 v28, v27, v26
	v_fma_f32 v29, -v25, v28, v27
	v_fmac_f32_e32 v28, v29, v26
	v_fma_f32 v25, -v25, v28, v27
	v_div_fmas_f32 v25, v25, v26, v28
	v_div_fixup_f32 v15, v25, s21, v15
	v_rndne_f32_e32 v15, v15
	v_cmp_nlt_f32_e32 vcc, s3, v15
	v_cndmask_b32_e32 v25, v1, v15, vcc
	v_cmp_ngt_f32_e32 vcc, s5, v15
	v_cndmask_b32_e32 v15, v22, v25, vcc
	v_div_scale_f32 v25, s[8:9], s21, s21, v16
	v_rcp_f32_e32 v26, v25
	v_cvt_i32_f32_sdwa v15, v15 dst_sel:BYTE_1 dst_unused:UNUSED_PAD src0_sel:DWORD
	v_fma_f32 v27, -v25, v26, 1.0
	v_fmac_f32_e32 v26, v27, v26
	v_div_scale_f32 v27, vcc, v16, s21, v16
	v_mul_f32_e32 v28, v27, v26
	v_fma_f32 v29, -v25, v28, v27
	v_fmac_f32_e32 v28, v29, v26
	v_fma_f32 v25, -v25, v28, v27
	v_div_fmas_f32 v25, v25, v26, v28
	v_div_fixup_f32 v16, v25, s21, v16
	v_rndne_f32_e32 v16, v16
	v_cmp_nlt_f32_e32 vcc, s3, v16
	v_cndmask_b32_e32 v25, v1, v16, vcc
	v_cmp_ngt_f32_e32 vcc, s5, v16
	v_cndmask_b32_e32 v16, v22, v25, vcc
	v_div_scale_f32 v25, s[8:9], s21, s21, v17
	v_rcp_f32_e32 v26, v25
	v_cvt_i32_f32_e32 v16, v16
	v_fma_f32 v27, -v25, v26, 1.0
	v_fmac_f32_e32 v26, v27, v26
	v_div_scale_f32 v27, vcc, v17, s21, v17
	v_mul_f32_e32 v28, v27, v26
	v_fma_f32 v29, -v25, v28, v27
	v_fmac_f32_e32 v28, v29, v26
	v_fma_f32 v25, -v25, v28, v27
	v_div_fmas_f32 v25, v25, v26, v28
	v_div_fixup_f32 v17, v25, s21, v17
	v_rndne_f32_e32 v17, v17
	v_cmp_nlt_f32_e32 vcc, s3, v17
	v_cndmask_b32_e32 v25, v1, v17, vcc
	v_cmp_ngt_f32_e32 vcc, s5, v17
	v_cndmask_b32_e32 v17, v22, v25, vcc
	v_div_scale_f32 v25, s[8:9], s21, s21, v10
	v_rcp_f32_e32 v26, v25
	v_cvt_i32_f32_sdwa v17, v17 dst_sel:BYTE_1 dst_unused:UNUSED_PAD src0_sel:DWORD
	;; [unrolled: 34-line block ×7, first 2 shown]
	v_fma_f32 v27, -v25, v26, 1.0
	v_fmac_f32_e32 v26, v27, v26
	v_div_scale_f32 v27, vcc, v4, s21, v4
	v_mul_f32_e32 v28, v27, v26
	v_fma_f32 v29, -v25, v28, v27
	v_fmac_f32_e32 v28, v29, v26
	v_fma_f32 v25, -v25, v28, v27
	v_div_fmas_f32 v25, v25, v26, v28
	v_div_fixup_f32 v4, v25, s21, v4
	v_rndne_f32_e32 v4, v4
	v_cmp_nlt_f32_e32 vcc, s3, v4
	v_cndmask_b32_e32 v25, v1, v4, vcc
	v_cmp_ngt_f32_e32 vcc, s5, v4
	v_cndmask_b32_e32 v4, v22, v25, vcc
	v_div_scale_f32 v25, s[8:9], s21, s21, v5
	v_rcp_f32_e32 v26, v25
	v_cvt_i32_f32_e32 v4, v4
	v_or_b32_sdwa v2, v2, v3 dst_sel:DWORD dst_unused:UNUSED_PAD src0_sel:BYTE_0 src1_sel:DWORD
	v_fma_f32 v27, -v25, v26, 1.0
	v_fmac_f32_e32 v26, v27, v26
	v_div_scale_f32 v27, vcc, v5, s21, v5
	v_mul_f32_e32 v28, v27, v26
	v_fma_f32 v29, -v25, v28, v27
	v_fmac_f32_e32 v28, v29, v26
	v_fma_f32 v25, -v25, v28, v27
	v_div_fmas_f32 v25, v25, v26, v28
	v_div_fixup_f32 v5, v25, s21, v5
	v_rndne_f32_e32 v5, v5
	v_cmp_nlt_f32_e32 vcc, s3, v5
	v_cndmask_b32_e32 v25, v1, v5, vcc
	v_cmp_ngt_f32_e32 vcc, s5, v5
	v_cndmask_b32_e32 v5, v22, v25, vcc
	v_cvt_i32_f32_sdwa v5, v5 dst_sel:BYTE_1 dst_unused:UNUSED_PAD src0_sel:DWORD
	v_or_b32_sdwa v3, v4, v5 dst_sel:WORD_1 dst_unused:UNUSED_PAD src0_sel:BYTE_0 src1_sel:DWORD
	v_or_b32_sdwa v5, v2, v3 dst_sel:DWORD dst_unused:UNUSED_PAD src0_sel:WORD_0 src1_sel:DWORD
	v_or_b32_sdwa v2, v6, v7 dst_sel:DWORD dst_unused:UNUSED_PAD src0_sel:BYTE_0 src1_sel:DWORD
	v_or_b32_sdwa v3, v8, v9 dst_sel:WORD_1 dst_unused:UNUSED_PAD src0_sel:BYTE_0 src1_sel:DWORD
	v_or_b32_sdwa v4, v2, v3 dst_sel:DWORD dst_unused:UNUSED_PAD src0_sel:WORD_0 src1_sel:DWORD
	v_or_b32_sdwa v2, v10, v11 dst_sel:DWORD dst_unused:UNUSED_PAD src0_sel:BYTE_0 src1_sel:DWORD
	;; [unrolled: 3-line block ×3, first 2 shown]
	v_or_b32_sdwa v6, v16, v17 dst_sel:WORD_1 dst_unused:UNUSED_PAD src0_sel:BYTE_0 src1_sel:DWORD
	v_or_b32_sdwa v2, v2, v6 dst_sel:DWORD dst_unused:UNUSED_PAD src0_sel:WORD_0 src1_sel:DWORD
	global_store_dwordx4 v[18:19], v[2:5], off
	v_add_co_u32_e32 v18, vcc, s4, v18
	v_addc_co_u32_e32 v19, vcc, v19, v23, vcc
	v_add_co_u32_e32 v20, vcc, s2, v20
	v_addc_co_u32_e32 v21, vcc, v21, v24, vcc
	v_cmp_le_i32_e32 vcc, s6, v0
	s_or_b64 s[0:1], vcc, s[0:1]
	s_andn2_b64 exec, exec, s[0:1]
	s_cbranch_execnz .LBB0_24
.LBB0_25:
	s_endpgm
	.section	.rodata,"a",@progbits
	.p2align	6, 0x0
	.amdhsa_kernel _ZN4vllm31static_scaled_int8_quant_kernelIffEEvPKT_PaPKT0_i
		.amdhsa_group_segment_fixed_size 0
		.amdhsa_private_segment_fixed_size 0
		.amdhsa_kernarg_size 288
		.amdhsa_user_sgpr_count 6
		.amdhsa_user_sgpr_private_segment_buffer 1
		.amdhsa_user_sgpr_dispatch_ptr 0
		.amdhsa_user_sgpr_queue_ptr 0
		.amdhsa_user_sgpr_kernarg_segment_ptr 1
		.amdhsa_user_sgpr_dispatch_id 0
		.amdhsa_user_sgpr_flat_scratch_init 0
		.amdhsa_user_sgpr_kernarg_preload_length 0
		.amdhsa_user_sgpr_kernarg_preload_offset 0
		.amdhsa_user_sgpr_private_segment_size 0
		.amdhsa_uses_dynamic_stack 0
		.amdhsa_system_sgpr_private_segment_wavefront_offset 0
		.amdhsa_system_sgpr_workgroup_id_x 1
		.amdhsa_system_sgpr_workgroup_id_y 0
		.amdhsa_system_sgpr_workgroup_id_z 0
		.amdhsa_system_sgpr_workgroup_info 0
		.amdhsa_system_vgpr_workitem_id 0
		.amdhsa_next_free_vgpr 32
		.amdhsa_next_free_sgpr 30
		.amdhsa_accum_offset 32
		.amdhsa_reserve_vcc 1
		.amdhsa_reserve_flat_scratch 0
		.amdhsa_float_round_mode_32 0
		.amdhsa_float_round_mode_16_64 0
		.amdhsa_float_denorm_mode_32 3
		.amdhsa_float_denorm_mode_16_64 3
		.amdhsa_dx10_clamp 1
		.amdhsa_ieee_mode 1
		.amdhsa_fp16_overflow 0
		.amdhsa_tg_split 0
		.amdhsa_exception_fp_ieee_invalid_op 0
		.amdhsa_exception_fp_denorm_src 0
		.amdhsa_exception_fp_ieee_div_zero 0
		.amdhsa_exception_fp_ieee_overflow 0
		.amdhsa_exception_fp_ieee_underflow 0
		.amdhsa_exception_fp_ieee_inexact 0
		.amdhsa_exception_int_div_zero 0
	.end_amdhsa_kernel
	.section	.text._ZN4vllm31static_scaled_int8_quant_kernelIffEEvPKT_PaPKT0_i,"axG",@progbits,_ZN4vllm31static_scaled_int8_quant_kernelIffEEvPKT_PaPKT0_i,comdat
.Lfunc_end0:
	.size	_ZN4vllm31static_scaled_int8_quant_kernelIffEEvPKT_PaPKT0_i, .Lfunc_end0-_ZN4vllm31static_scaled_int8_quant_kernelIffEEvPKT_PaPKT0_i
                                        ; -- End function
	.section	.AMDGPU.csdata,"",@progbits
; Kernel info:
; codeLenInByte = 5604
; NumSgprs: 34
; NumVgprs: 32
; NumAgprs: 0
; TotalNumVgprs: 32
; ScratchSize: 0
; MemoryBound: 0
; FloatMode: 240
; IeeeMode: 1
; LDSByteSize: 0 bytes/workgroup (compile time only)
; SGPRBlocks: 4
; VGPRBlocks: 3
; NumSGPRsForWavesPerEU: 34
; NumVGPRsForWavesPerEU: 32
; AccumOffset: 32
; Occupancy: 8
; WaveLimiterHint : 0
; COMPUTE_PGM_RSRC2:SCRATCH_EN: 0
; COMPUTE_PGM_RSRC2:USER_SGPR: 6
; COMPUTE_PGM_RSRC2:TRAP_HANDLER: 0
; COMPUTE_PGM_RSRC2:TGID_X_EN: 1
; COMPUTE_PGM_RSRC2:TGID_Y_EN: 0
; COMPUTE_PGM_RSRC2:TGID_Z_EN: 0
; COMPUTE_PGM_RSRC2:TIDIG_COMP_CNT: 0
; COMPUTE_PGM_RSRC3_GFX90A:ACCUM_OFFSET: 7
; COMPUTE_PGM_RSRC3_GFX90A:TG_SPLIT: 0
	.section	.text._ZN4vllm35static_scaled_int8_azp_quant_kernelIffiEEvPKT_PaPKT0_PKT1_i,"axG",@progbits,_ZN4vllm35static_scaled_int8_azp_quant_kernelIffiEEvPKT_PaPKT0_PKT1_i,comdat
	.protected	_ZN4vllm35static_scaled_int8_azp_quant_kernelIffiEEvPKT_PaPKT0_PKT1_i ; -- Begin function _ZN4vllm35static_scaled_int8_azp_quant_kernelIffiEEvPKT_PaPKT0_PKT1_i
	.globl	_ZN4vllm35static_scaled_int8_azp_quant_kernelIffiEEvPKT_PaPKT0_PKT1_i
	.p2align	8
	.type	_ZN4vllm35static_scaled_int8_azp_quant_kernelIffiEEvPKT_PaPKT0_PKT1_i,@function
_ZN4vllm35static_scaled_int8_azp_quant_kernelIffiEEvPKT_PaPKT0_PKT1_i: ; @_ZN4vllm35static_scaled_int8_azp_quant_kernelIffiEEvPKT_PaPKT0_PKT1_i
; %bb.0:
	s_load_dwordx8 s[64:71], s[4:5], 0x0
	s_load_dword s87, s[4:5], 0x20
	s_load_dword s0, s[4:5], 0x34
	s_waitcnt lgkmcnt(0)
	s_ashr_i32 s3, s87, 31
	s_load_dword s2, s[68:69], 0x0
	s_and_b32 s33, s0, 0xffff
	s_mul_i32 s3, s3, s6
	s_load_dword s84, s[70:71], 0x0
	s_mul_i32 s70, s87, s6
	s_waitcnt lgkmcnt(0)
	v_div_scale_f32 v1, s[0:1], s2, s2, 1.0
	v_rcp_f32_e32 v2, v1
	s_mul_hi_u32 s0, s87, s6
	s_add_i32 s71, s0, s3
	v_div_scale_f32 v3, vcc, 1.0, s2, 1.0
	v_fma_f32 v4, -v1, v2, 1.0
	v_fmac_f32_e32 v2, v4, v2
	s_lshl_b64 s[68:69], s[70:71], 2
	v_mul_f32_e32 v4, v3, v2
	s_add_u32 s85, s64, s68
	v_fma_f32 v5, -v1, v4, v3
	s_addc_u32 s86, s65, s69
	v_fmac_f32_e32 v4, v5, v2
	s_add_u32 s72, s66, s70
	v_fma_f32 v1, -v1, v4, v3
	s_addc_u32 s73, s67, s71
	s_and_b32 s0, s85, 63
	s_mov_b32 s1, 0
	v_div_fmas_f32 v1, v1, v2, v4
	s_cmp_lg_u64 s[0:1], 0
	v_div_fixup_f32 v18, v1, s2, 1.0
	s_cselect_b64 s[0:1], -1, 0
	s_and_b32 s2, s87, 15
	s_cmp_lg_u32 s2, 0
	s_cselect_b64 s[2:3], -1, 0
	s_or_b64 s[2:3], s[2:3], s[0:1]
	s_mov_b64 s[0:1], -1
	s_and_b64 vcc, exec, s[2:3]
	s_cbranch_vccz .LBB1_98
; %bb.1:
	s_sub_i32 s0, 0, s85
	s_bfe_u32 s0, s0, 0x40002
	s_min_i32 s74, s0, s87
	v_cmp_gt_i32_e32 vcc, s74, v0
	s_and_saveexec_b64 s[2:3], vcc
	s_cbranch_execz .LBB1_13
; %bb.2:
	v_cvt_f32_u32_e32 v1, s33
	v_add_u32_e32 v2, s33, v0
	v_mov_b32_e32 v3, s33
	s_sub_i32 s4, 0, s33
	v_rcp_iflag_f32_e32 v1, v1
	v_cmp_gt_i32_e32 vcc, s74, v2
	v_max_i32_e32 v4, s74, v2
	v_addc_co_u32_e64 v2, s[0:1], v0, v3, vcc
	v_mul_f32_e32 v1, 0x4f7ffffe, v1
	v_cvt_u32_f32_e32 v1, v1
	v_sub_u32_e32 v2, v4, v2
	s_cmp_eq_u32 s33, 1
	v_mul_lo_u32 v3, s4, v1
	v_mul_hi_u32 v3, v1, v3
	v_add_u32_e32 v1, v1, v3
	v_mul_hi_u32 v1, v2, v1
	v_mul_lo_u32 v3, v1, s33
	v_sub_u32_e32 v2, v2, v3
	v_add_u32_e32 v4, 1, v1
	v_cmp_le_u32_e64 s[0:1], s33, v2
	v_subrev_u32_e32 v3, s33, v2
	v_cndmask_b32_e64 v1, v1, v4, s[0:1]
	v_cndmask_b32_e64 v2, v2, v3, s[0:1]
	v_add_u32_e32 v3, 1, v1
	v_cmp_le_u32_e64 s[0:1], s33, v2
	v_cndmask_b32_e64 v1, v1, v3, s[0:1]
	v_addc_co_u32_e32 v1, vcc, 1, v1, vcc
	v_cmp_lt_u32_e32 vcc, 1, v1
	s_cselect_b64 s[0:1], -1, 0
	s_and_b64 s[6:7], vcc, s[0:1]
	s_mov_b64 s[4:5], -1
	v_mov_b32_e32 v2, v0
	s_and_saveexec_b64 s[0:1], s[6:7]
	s_cbranch_execz .LBB1_6
; %bb.3:
	v_and_b32_e32 v4, -2, v1
	v_mov_b32_e32 v19, v18
	s_mov_b32 s6, s84
	s_mov_b64 s[4:5], 0
	v_mov_b32_e32 v3, 0
	v_mov_b32_e32 v5, s86
	s_mov_b32 s7, 0x4f000000
	s_mov_b32 s8, 0xcf000000
	v_mov_b32_e32 v6, 0xcf000000
	v_bfrev_b32_e32 v7, -2
	s_movk_i32 s9, 0xff80
	v_mov_b32_e32 v8, 0x7f
	v_mov_b32_e32 v2, v0
	;; [unrolled: 1-line block ×3, first 2 shown]
.LBB1_4:                                ; =>This Inner Loop Header: Depth=1
	v_lshlrev_b64 v[10:11], 2, v[2:3]
	v_add_co_u32_e32 v10, vcc, s85, v10
	v_addc_co_u32_e32 v11, vcc, v5, v11, vcc
	global_load_dwordx2 v[10:11], v[10:11], off
	v_add_u32_e32 v9, -2, v9
	v_cmp_eq_u32_e32 vcc, 0, v9
	s_or_b64 s[4:5], vcc, s[4:5]
	s_waitcnt vmcnt(0)
	v_pk_mul_f32 v[10:11], v[18:19], v[10:11]
	v_rndne_f32_e32 v10, v10
	v_rndne_f32_e32 v11, v11
	v_cmp_nge_f32_e32 vcc, s8, v10
	v_cndmask_b32_e32 v12, v6, v10, vcc
	v_cmp_nge_f32_e32 vcc, s8, v11
	v_cvt_i32_f32_e32 v12, v12
	v_cndmask_b32_e32 v13, v6, v11, vcc
	v_cvt_i32_f32_e32 v13, v13
	v_cmp_nle_f32_e32 vcc, s7, v10
	v_cndmask_b32_e32 v10, v7, v12, vcc
	v_cmp_nle_f32_e32 vcc, s7, v11
	v_cndmask_b32_e32 v11, v7, v13, vcc
	v_add_u32_e32 v11, s6, v11
	v_add_u32_e32 v10, s84, v10
	v_med3_i32 v11, v11, s9, v8
	v_med3_i32 v10, v10, s9, v8
	v_lshlrev_b16_e32 v11, 8, v11
	v_or_b32_sdwa v10, v10, v11 dst_sel:DWORD dst_unused:UNUSED_PAD src0_sel:BYTE_0 src1_sel:DWORD
	global_store_short v2, v10, s[72:73]
	v_add_u32_e32 v2, 2, v2
	s_andn2_b64 exec, exec, s[4:5]
	s_cbranch_execnz .LBB1_4
; %bb.5:
	s_or_b64 exec, exec, s[4:5]
	v_cmp_ne_u32_e32 vcc, v1, v4
	v_add_u32_e32 v2, v0, v4
	s_orn2_b64 s[4:5], vcc, exec
.LBB1_6:
	s_or_b64 exec, exec, s[0:1]
	s_and_b64 exec, exec, s[4:5]
	s_cbranch_execz .LBB1_13
; %bb.7:
	s_add_u32 s0, s66, s70
	s_addc_u32 s1, s67, s71
	v_mov_b32_e32 v3, 0
	v_mov_b32_e32 v4, s1
	v_add_co_u32_e32 v1, vcc, s0, v2
	s_add_u32 s0, s64, s68
	v_addc_co_u32_e32 v6, vcc, 0, v4, vcc
	v_lshlrev_b64 v[4:5], 2, v[2:3]
	s_addc_u32 s1, s65, s69
	s_mov_b32 s4, 0
	v_mov_b32_e32 v3, s1
	v_add_co_u32_e32 v4, vcc, s0, v4
	v_addc_co_u32_e32 v5, vcc, v3, v5, vcc
	s_lshl_b32 s10, s33, 2
	s_mov_b64 s[0:1], 0
	s_mov_b32 s11, 0x4f000000
	s_mov_b32 s12, 0xcf000000
	s_movk_i32 s13, 0xff80
	v_mov_b32_e32 v3, 0x7f
	v_mov_b32_e32 v7, s4
	s_mov_b64 s[4:5], 0
	s_branch .LBB1_10
.LBB1_8:                                ;   in Loop: Header=BB1_10 Depth=1
	s_or_b64 exec, exec, s[8:9]
.LBB1_9:                                ;   in Loop: Header=BB1_10 Depth=1
	s_or_b64 exec, exec, s[6:7]
	v_mov_b32_e32 v9, s5
	v_add_co_u32_e32 v10, vcc, s4, v1
	v_add_u32_e32 v8, s84, v8
	v_addc_co_u32_e32 v11, vcc, v6, v9, vcc
	v_med3_i32 v8, v8, s13, v3
	s_add_u32 s4, s4, s33
	global_store_byte v[10:11], v8, off
	v_add_u32_e32 v8, s4, v2
	s_addc_u32 s5, s5, 0
	v_cmp_le_i32_e32 vcc, s74, v8
	s_or_b64 s[0:1], vcc, s[0:1]
	v_add_co_u32_e32 v4, vcc, s10, v4
	v_addc_co_u32_e32 v5, vcc, v5, v7, vcc
	s_andn2_b64 exec, exec, s[0:1]
	s_cbranch_execz .LBB1_13
.LBB1_10:                               ; =>This Inner Loop Header: Depth=1
	global_load_dword v8, v[4:5], off
	s_waitcnt vmcnt(0)
	v_mul_f32_e32 v8, v18, v8
	v_rndne_f32_e32 v9, v8
	v_cmp_nle_f32_e32 vcc, s11, v9
	v_bfrev_b32_e32 v8, -2
	s_and_saveexec_b64 s[6:7], vcc
	s_cbranch_execz .LBB1_9
; %bb.11:                               ;   in Loop: Header=BB1_10 Depth=1
	v_cmp_nge_f32_e32 vcc, s12, v9
	v_bfrev_b32_e32 v8, 1
	s_and_saveexec_b64 s[8:9], vcc
	s_cbranch_execz .LBB1_8
; %bb.12:                               ;   in Loop: Header=BB1_10 Depth=1
	v_cvt_i32_f32_e32 v8, v9
	s_branch .LBB1_8
.LBB1_13:
	s_or_b64 exec, exec, s[2:3]
	s_ashr_i32 s75, s74, 31
	s_lshl_b64 s[76:77], s[74:75], 2
	s_add_u32 s89, s85, s76
	s_addc_u32 s13, s86, s77
	s_add_u32 s90, s72, s74
	s_addc_u32 s16, s73, s75
	s_sub_i32 s88, s87, s74
	s_ashr_i32 s0, s88, 31
	s_lshr_b32 s0, s0, 28
	s_add_i32 s0, s88, s0
	s_ashr_i32 s93, s0, 4
	v_cmp_gt_i32_e32 vcc, s93, v0
	s_and_saveexec_b64 s[78:79], vcc
	s_cbranch_execz .LBB1_85
; %bb.14:
	v_cvt_f32_u32_e32 v1, s33
	v_add_u32_e32 v2, s33, v0
	v_mov_b32_e32 v3, s33
	s_sub_i32 s2, 0, s33
	v_rcp_iflag_f32_e32 v1, v1
	v_cmp_gt_i32_e32 vcc, s93, v2
	v_max_i32_e32 v4, s93, v2
	v_addc_co_u32_e64 v2, s[0:1], v0, v3, vcc
	v_mul_f32_e32 v1, 0x4f7ffffe, v1
	v_cvt_u32_f32_e32 v1, v1
	v_sub_u32_e32 v2, v4, v2
	s_cmp_eq_u32 s33, 1
	v_mov_b32_e32 v20, v0
	v_mul_lo_u32 v3, s2, v1
	v_mul_hi_u32 v3, v1, v3
	v_add_u32_e32 v1, v1, v3
	v_mul_hi_u32 v1, v2, v1
	v_mul_lo_u32 v3, v1, s33
	v_sub_u32_e32 v2, v2, v3
	v_add_u32_e32 v4, 1, v1
	v_cmp_le_u32_e64 s[0:1], s33, v2
	v_subrev_u32_e32 v3, s33, v2
	v_cndmask_b32_e64 v1, v1, v4, s[0:1]
	v_cndmask_b32_e64 v2, v2, v3, s[0:1]
	v_add_u32_e32 v3, 1, v1
	v_cmp_le_u32_e64 s[0:1], s33, v2
	v_cndmask_b32_e64 v1, v1, v3, s[0:1]
	v_addc_co_u32_e32 v10, vcc, 1, v1, vcc
	v_cmp_lt_u32_e32 vcc, 1, v10
	s_cselect_b64 s[0:1], -1, 0
	s_and_b64 s[2:3], vcc, s[0:1]
	s_mov_b64 s[0:1], -1
	s_and_saveexec_b64 s[80:81], s[2:3]
	s_cbranch_execz .LBB1_18
; %bb.15:
	v_and_b32_e32 v11, -2, v10
	v_add_u32_e32 v1, 1, v0
                                        ; implicit-def: $vgpr62 : SGPR spill to VGPR lane
	v_mov_b32_e32 v19, v18
	s_mov_b32 s94, s84
	s_mov_b64 s[82:83], 0
	v_writelane_b32 v62, s13, 0
	v_mov_b32_e32 v12, s13
	s_mov_b32 s95, 0x4f000000
	s_mov_b32 s91, 0xcf000000
	v_mov_b32_e32 v13, 0xcf000000
	v_bfrev_b32_e32 v14, -2
	s_movk_i32 s92, 0xff80
	v_mov_b32_e32 v15, 0x7f
	v_mov_b32_e32 v16, s16
	;; [unrolled: 1-line block ×4, first 2 shown]
	v_pk_mov_b32 v[4:5], v[0:1], v[0:1] op_sel:[0,1]
	v_writelane_b32 v62, s16, 1
.LBB1_16:                               ; =>This Inner Loop Header: Depth=1
	v_mov_b32_e32 v2, v4
	v_lshlrev_b64 v[8:9], 6, v[2:3]
	v_mov_b32_e32 v6, v5
	v_mov_b32_e32 v7, v3
	v_add_co_u32_e64 v52, s[0:1], s89, v8
	v_lshlrev_b64 v[20:21], 6, v[6:7]
	v_addc_co_u32_e64 v53, s[0:1], v12, v9, s[0:1]
	v_add_co_u32_e64 v54, s[0:1], s89, v20
	v_lshlrev_b64 v[22:23], 4, v[2:3]
	v_addc_co_u32_e64 v55, s[0:1], v12, v21, s[0:1]
	v_add_co_u32_e64 v8, s[0:1], s90, v22
	v_addc_co_u32_e64 v9, s[0:1], v16, v23, s[0:1]
	global_load_dwordx4 v[20:23], v[52:53], off
	global_load_dwordx4 v[24:27], v[54:55], off
	global_load_dwordx4 v[28:31], v[52:53], off offset:16
	global_load_dwordx4 v[32:35], v[54:55], off offset:16
	;; [unrolled: 1-line block ×6, first 2 shown]
	v_add_u32_e32 v17, -2, v17
	v_cmp_eq_u32_e32 vcc, 0, v17
	s_or_b64 s[82:83], vcc, s[82:83]
	v_lshlrev_b64 v[6:7], 4, v[6:7]
	v_add_co_u32_e64 v6, s[0:1], s90, v6
	v_addc_co_u32_e64 v7, s[0:1], v16, v7, s[0:1]
	v_add_u32_e32 v5, 2, v5
	v_add_u32_e32 v4, 2, v4
	s_waitcnt vmcnt(7)
	v_mov_b32_e32 v52, v20
	s_waitcnt vmcnt(6)
	v_mov_b32_e32 v53, v24
	v_mov_b32_e32 v24, v21
	v_mov_b32_e32 v20, v22
	v_mov_b32_e32 v21, v26
	v_mov_b32_e32 v26, v23
	s_waitcnt vmcnt(5)
	v_mov_b32_e32 v22, v28
	s_waitcnt vmcnt(4)
	v_mov_b32_e32 v23, v32
	v_mov_b32_e32 v32, v29
	v_mov_b32_e32 v28, v30
	v_mov_b32_e32 v29, v34
	v_mov_b32_e32 v34, v31
	;; [unrolled: 8-line block ×4, first 2 shown]
	v_pk_mul_f32 v[46:47], v[18:19], v[52:53]
	v_rndne_f32_e32 v1, v46
	v_pk_mul_f32 v[24:25], v[18:19], v[24:25]
	v_pk_mul_f32 v[48:49], v[18:19], v[48:49]
	;; [unrolled: 1-line block ×3, first 2 shown]
	v_rndne_f32_e32 v2, v47
	v_cmp_nge_f32_e32 vcc, s91, v1
	v_rndne_f32_e32 v24, v24
	v_rndne_f32_e32 v46, v48
	;; [unrolled: 1-line block ×3, first 2 shown]
	v_cndmask_b32_e32 v50, v13, v1, vcc
	v_cmp_nge_f32_e32 vcc, s91, v2
	v_pk_mul_f32 v[20:21], v[18:19], v[20:21]
	v_rndne_f32_e32 v25, v25
	v_rndne_f32_e32 v47, v49
	;; [unrolled: 1-line block ×3, first 2 shown]
	v_cndmask_b32_e32 v51, v13, v2, vcc
	v_cmp_nge_f32_e32 vcc, s91, v24
	v_rndne_f32_e32 v20, v20
	v_cndmask_b32_e32 v52, v13, v24, vcc
	v_cmp_nge_f32_e32 vcc, s91, v25
	v_pk_mul_f32 v[26:27], v[18:19], v[26:27]
	v_rndne_f32_e32 v21, v21
	v_cndmask_b32_e32 v53, v13, v25, vcc
	v_cmp_nge_f32_e32 vcc, s91, v20
	v_rndne_f32_e32 v26, v26
	v_cndmask_b32_e32 v54, v13, v20, vcc
	v_cmp_nge_f32_e32 vcc, s91, v21
	v_pk_mul_f32 v[22:23], v[18:19], v[22:23]
	v_rndne_f32_e32 v27, v27
	;; [unrolled: 7-line block ×3, first 2 shown]
	v_cndmask_b32_e32 v57, v13, v27, vcc
	v_cmp_nge_f32_e32 vcc, s91, v22
	v_pk_mul_f32 v[28:29], v[18:19], v[28:29]
	v_rndne_f32_e32 v32, v32
	v_cndmask_b32_e32 v58, v13, v22, vcc
	v_cmp_nge_f32_e32 vcc, s91, v23
	v_pk_mul_f32 v[34:35], v[18:19], v[34:35]
	v_rndne_f32_e32 v33, v33
	v_rndne_f32_e32 v28, v28
	;; [unrolled: 1-line block ×3, first 2 shown]
	v_cndmask_b32_e32 v59, v13, v23, vcc
	v_cmp_nge_f32_e32 vcc, s91, v32
	v_rndne_f32_e32 v34, v34
	v_cndmask_b32_e32 v60, v13, v32, vcc
	v_cmp_nge_f32_e32 vcc, s91, v33
	v_cmp_nge_f32_e64 s[0:1], s91, v28
	v_cmp_nge_f32_e64 s[2:3], s91, v29
	v_pk_mul_f32 v[30:31], v[18:19], v[30:31]
	v_rndne_f32_e32 v35, v35
	v_cndmask_b32_e32 v61, v13, v33, vcc
	v_cmp_nle_f32_e32 vcc, s95, v2
	v_cndmask_b32_e64 v2, v13, v28, s[0:1]
	v_cmp_nle_f32_e64 s[0:1], s95, v25
	v_cndmask_b32_e64 v25, v13, v29, s[2:3]
	v_cmp_nge_f32_e64 s[2:3], s91, v34
	v_rndne_f32_e32 v30, v30
	v_cmp_nle_f32_e64 s[4:5], s95, v24
	v_cndmask_b32_e64 v24, v13, v34, s[2:3]
	v_cmp_nge_f32_e64 s[2:3], s91, v35
	v_pk_mul_f32 v[40:41], v[18:19], v[40:41]
	v_rndne_f32_e32 v31, v31
	v_cmp_nle_f32_e64 s[6:7], s95, v21
	v_cndmask_b32_e64 v21, v13, v35, s[2:3]
	v_cmp_nge_f32_e64 s[2:3], s91, v30
	v_rndne_f32_e32 v40, v40
	v_cmp_nle_f32_e64 s[8:9], s95, v20
	v_cndmask_b32_e64 v20, v13, v30, s[2:3]
	v_cmp_nge_f32_e64 s[2:3], s91, v31
	v_pk_mul_f32 v[36:37], v[18:19], v[36:37]
	v_rndne_f32_e32 v41, v41
	;; [unrolled: 9-line block ×4, first 2 shown]
	v_cmp_nle_f32_e64 s[18:19], s95, v33
	v_cndmask_b32_e64 v33, v13, v37, s[2:3]
	v_cmp_nge_f32_e64 s[2:3], s91, v42
	v_rndne_f32_e32 v38, v38
	v_cmp_nle_f32_e64 s[20:21], s95, v32
	v_cndmask_b32_e64 v32, v13, v42, s[2:3]
	v_cmp_nge_f32_e64 s[2:3], s91, v43
	v_rndne_f32_e32 v39, v39
	v_cmp_nle_f32_e64 s[22:23], s95, v29
	v_cndmask_b32_e64 v29, v13, v43, s[2:3]
	v_cmp_nge_f32_e64 s[2:3], s91, v38
	v_cmp_nle_f32_e64 s[24:25], s95, v28
	v_cndmask_b32_e64 v28, v13, v38, s[2:3]
	v_cmp_nge_f32_e64 s[2:3], s91, v39
	v_pk_mul_f32 v[44:45], v[18:19], v[44:45]
	v_cmp_nle_f32_e64 s[26:27], s95, v35
	v_cndmask_b32_e64 v35, v13, v39, s[2:3]
	v_cmp_nge_f32_e64 s[2:3], s91, v46
	v_rndne_f32_e32 v44, v44
	v_cmp_nle_f32_e64 s[28:29], s95, v34
	v_cndmask_b32_e64 v34, v13, v46, s[2:3]
	v_cmp_nge_f32_e64 s[2:3], s91, v47
	v_rndne_f32_e32 v45, v45
	v_cmp_nle_f32_e64 s[30:31], s95, v31
	v_cndmask_b32_e64 v31, v13, v47, s[2:3]
	v_cmp_nge_f32_e64 s[2:3], s91, v44
	v_cmp_nle_f32_e64 s[34:35], s95, v30
	v_cndmask_b32_e64 v30, v13, v44, s[2:3]
	v_cmp_nge_f32_e64 s[2:3], s91, v45
	;; [unrolled: 3-line block ×4, first 2 shown]
	v_cmp_nle_f32_e64 s[40:41], s95, v37
	v_cndmask_b32_e64 v37, v13, v49, s[2:3]
	v_cvt_i32_f32_e32 v53, v53
	v_cvt_i32_f32_e32 v57, v57
	;; [unrolled: 1-line block ×18, first 2 shown]
	v_cmp_nle_f32_e64 s[2:3], s95, v36
	v_cvt_i32_f32_e32 v35, v35
	v_cvt_i32_f32_e32 v36, v41
	;; [unrolled: 1-line block ×11, first 2 shown]
	v_cmp_nle_f32_e64 s[48:49], s95, v38
	v_cvt_i32_f32_e32 v34, v34
	v_cvt_i32_f32_e32 v30, v30
	;; [unrolled: 1-line block ×3, first 2 shown]
	v_cmp_nle_f32_e64 s[42:43], s95, v43
	v_cmp_nle_f32_e64 s[50:51], s95, v47
	;; [unrolled: 1-line block ×6, first 2 shown]
	v_cndmask_b32_e64 v41, v14, v53, s[0:1]
	v_cndmask_b32_e64 v45, v14, v57, s[10:11]
	;; [unrolled: 1-line block ×8, first 2 shown]
	v_cmp_nle_f32_e64 s[44:45], s95, v42
	v_cmp_nle_f32_e64 s[52:53], s95, v46
	;; [unrolled: 1-line block ×4, first 2 shown]
	v_cndmask_b32_e64 v1, v14, v50, s[62:63]
	v_cndmask_b32_e32 v39, v14, v51, vcc
	v_cndmask_b32_e64 v43, v14, v55, s[6:7]
	v_cndmask_b32_e64 v47, v14, v59, s[14:15]
	v_cndmask_b32_e64 v2, v14, v2, s[24:25]
	v_cndmask_b32_e64 v25, v14, v25, s[22:23]
	v_cndmask_b32_e64 v20, v14, v20, s[34:35]
	v_cndmask_b32_e64 v27, v14, v27, s[30:31]
	v_cndmask_b32_e64 v22, v14, v22, s[2:3]
	v_cndmask_b32_e64 v33, v14, v33, s[40:41]
	v_cndmask_b32_e64 v35, v14, v35, s[46:47]
	v_cndmask_b32_e64 v36, v14, v36, s[54:55]
	v_add_u32_e32 v41, s94, v41
	v_add_u32_e32 v45, s94, v45
	;; [unrolled: 1-line block ×8, first 2 shown]
	v_cndmask_b32_e64 v40, v14, v52, s[4:5]
	v_cndmask_b32_e64 v42, v14, v54, s[8:9]
	;; [unrolled: 1-line block ×12, first 2 shown]
	v_add_u32_e32 v39, s94, v39
	v_add_u32_e32 v1, s84, v1
	;; [unrolled: 1-line block ×12, first 2 shown]
	v_med3_i32 v41, v41, s92, v15
	v_med3_i32 v45, v45, s92, v15
	;; [unrolled: 1-line block ×8, first 2 shown]
	v_add_u32_e32 v40, s84, v40
	v_add_u32_e32 v42, s84, v42
	;; [unrolled: 1-line block ×12, first 2 shown]
	v_med3_i32 v1, v1, s92, v15
	v_med3_i32 v39, v39, s92, v15
	v_med3_i32 v43, v43, s92, v15
	v_med3_i32 v47, v47, s92, v15
	v_med3_i32 v2, v2, s92, v15
	v_med3_i32 v25, v25, s92, v15
	v_med3_i32 v20, v20, s92, v15
	v_med3_i32 v27, v27, s92, v15
	v_med3_i32 v22, v22, s92, v15
	v_med3_i32 v33, v33, s92, v15
	v_med3_i32 v35, v35, s92, v15
	v_med3_i32 v36, v36, s92, v15
	v_lshlrev_b16_e32 v41, 8, v41
	v_lshlrev_b16_e32 v45, 8, v45
	;; [unrolled: 1-line block ×8, first 2 shown]
	v_med3_i32 v40, v40, s92, v15
	v_med3_i32 v42, v42, s92, v15
	;; [unrolled: 1-line block ×12, first 2 shown]
	global_store_byte v[8:9], v1, off
	global_store_byte v[8:9], v40, off offset:1
	global_store_byte v[8:9], v42, off offset:2
	;; [unrolled: 1-line block ×15, first 2 shown]
	v_or_b32_sdwa v1, v39, v41 dst_sel:DWORD dst_unused:UNUSED_PAD src0_sel:BYTE_0 src1_sel:DWORD
	v_or_b32_sdwa v2, v43, v45 dst_sel:WORD_1 dst_unused:UNUSED_PAD src0_sel:BYTE_0 src1_sel:DWORD
	v_or_b32_sdwa v8, v47, v49 dst_sel:DWORD dst_unused:UNUSED_PAD src0_sel:BYTE_0 src1_sel:DWORD
	v_or_b32_sdwa v9, v25, v21 dst_sel:WORD_1 dst_unused:UNUSED_PAD src0_sel:BYTE_0 src1_sel:DWORD
	;; [unrolled: 2-line block ×4, first 2 shown]
	v_or_b32_sdwa v23, v22, v23 dst_sel:DWORD dst_unused:UNUSED_PAD src0_sel:WORD_0 src1_sel:DWORD
	v_or_b32_sdwa v22, v20, v21 dst_sel:DWORD dst_unused:UNUSED_PAD src0_sel:WORD_0 src1_sel:DWORD
	v_or_b32_sdwa v21, v8, v9 dst_sel:DWORD dst_unused:UNUSED_PAD src0_sel:WORD_0 src1_sel:DWORD
	v_or_b32_sdwa v20, v1, v2 dst_sel:DWORD dst_unused:UNUSED_PAD src0_sel:WORD_0 src1_sel:DWORD
	global_store_dwordx4 v[6:7], v[20:23], off
	s_andn2_b64 exec, exec, s[82:83]
	s_cbranch_execnz .LBB1_16
; %bb.17:
	s_or_b64 exec, exec, s[82:83]
	v_cmp_ne_u32_e32 vcc, v10, v11
	v_add_u32_e32 v20, v0, v11
	s_orn2_b64 s[0:1], vcc, exec
	v_readlane_b32 s13, v62, 0
	v_readlane_b32 s16, v62, 1
.LBB1_18:
	s_or_b64 exec, exec, s[80:81]
	s_and_b64 exec, exec, s[0:1]
	s_cbranch_execz .LBB1_85
; %bb.19:
	s_add_u32 s0, s74, s70
	s_addc_u32 s1, s75, s71
	v_mov_b32_e32 v21, 0
	s_add_u32 s0, s66, s0
	v_lshlrev_b64 v[2:3], 4, v[20:21]
	s_addc_u32 s1, s67, s1
	s_lshl_b32 s7, s33, 4
	v_add_co_u32_e32 v22, vcc, s0, v2
	s_add_u32 s0, s64, s76
	v_mov_b32_e32 v1, s1
	s_addc_u32 s1, s65, s77
	s_add_u32 s0, s0, s68
	v_addc_co_u32_e32 v23, vcc, v1, v3, vcc
	v_lshlrev_b64 v[2:3], 6, v[20:21]
	s_addc_u32 s1, s1, s69
	s_mov_b32 s6, 0
	v_mov_b32_e32 v1, s1
	v_add_co_u32_e32 v24, vcc, s0, v2
	v_addc_co_u32_e32 v25, vcc, v1, v3, vcc
	s_lshl_b32 s8, s33, 6
	s_mov_b32 s9, s6
	s_mov_b64 s[0:1], 0
	s_mov_b32 s10, 0x4f000000
	s_mov_b32 s11, 0xcf000000
	s_movk_i32 s12, 0xff80
	v_mov_b32_e32 v1, 0x7f
	s_branch .LBB1_22
.LBB1_20:                               ;   in Loop: Header=BB1_22 Depth=1
	s_or_b64 exec, exec, s[4:5]
.LBB1_21:                               ;   in Loop: Header=BB1_22 Depth=1
	s_or_b64 exec, exec, s[2:3]
	v_add_u32_e32 v5, s84, v9
	v_add_u32_e32 v3, s84, v3
	;; [unrolled: 1-line block ×3, first 2 shown]
	v_med3_i32 v5, v5, s12, v1
	v_add_u32_e32 v2, s84, v2
	v_med3_i32 v3, v3, s12, v1
	v_med3_i32 v4, v4, s12, v1
	;; [unrolled: 1-line block ×3, first 2 shown]
	v_add_u32_e32 v8, s84, v8
	v_add_u32_e32 v9, s84, v13
	v_lshlrev_b16_e32 v5, 8, v5
	v_lshlrev_b16_e32 v3, 8, v3
	v_med3_i32 v8, v8, s12, v1
	v_add_u32_e32 v7, s84, v7
	v_med3_i32 v9, v9, s12, v1
	v_add_u32_e32 v6, s84, v6
	v_or_b32_sdwa v2, v2, v5 dst_sel:DWORD dst_unused:UNUSED_PAD src0_sel:BYTE_0 src1_sel:DWORD
	v_or_b32_sdwa v3, v4, v3 dst_sel:WORD_1 dst_unused:UNUSED_PAD src0_sel:BYTE_0 src1_sel:DWORD
	v_med3_i32 v7, v7, s12, v1
	v_med3_i32 v6, v6, s12, v1
	v_add_u32_e32 v12, s84, v12
	v_add_u32_e32 v13, s84, v17
	v_or_b32_sdwa v5, v2, v3 dst_sel:DWORD dst_unused:UNUSED_PAD src0_sel:WORD_0 src1_sel:DWORD
	v_lshlrev_b16_e32 v2, 8, v9
	v_lshlrev_b16_e32 v3, 8, v8
	v_med3_i32 v12, v12, s12, v1
	v_add_u32_e32 v11, s84, v11
	v_med3_i32 v13, v13, s12, v1
	v_add_u32_e32 v10, s84, v10
	v_or_b32_sdwa v2, v6, v2 dst_sel:DWORD dst_unused:UNUSED_PAD src0_sel:BYTE_0 src1_sel:DWORD
	v_or_b32_sdwa v3, v7, v3 dst_sel:WORD_1 dst_unused:UNUSED_PAD src0_sel:BYTE_0 src1_sel:DWORD
	v_med3_i32 v11, v11, s12, v1
	v_med3_i32 v10, v10, s12, v1
	v_add_u32_e32 v16, s84, v16
	v_add_u32_e32 v17, s84, v19
	v_or_b32_sdwa v4, v2, v3 dst_sel:DWORD dst_unused:UNUSED_PAD src0_sel:WORD_0 src1_sel:DWORD
	v_lshlrev_b16_e32 v2, 8, v13
	v_lshlrev_b16_e32 v3, 8, v12
	v_med3_i32 v16, v16, s12, v1
	v_add_u32_e32 v15, s84, v15
	v_med3_i32 v17, v17, s12, v1
	v_add_u32_e32 v14, s84, v14
	v_or_b32_sdwa v2, v10, v2 dst_sel:DWORD dst_unused:UNUSED_PAD src0_sel:BYTE_0 src1_sel:DWORD
	v_or_b32_sdwa v3, v11, v3 dst_sel:WORD_1 dst_unused:UNUSED_PAD src0_sel:BYTE_0 src1_sel:DWORD
	v_med3_i32 v15, v15, s12, v1
	v_med3_i32 v14, v14, s12, v1
	v_or_b32_sdwa v3, v2, v3 dst_sel:DWORD dst_unused:UNUSED_PAD src0_sel:WORD_0 src1_sel:DWORD
	v_lshlrev_b16_e32 v2, 8, v17
	v_lshlrev_b16_e32 v6, 8, v16
	v_or_b32_sdwa v2, v14, v2 dst_sel:DWORD dst_unused:UNUSED_PAD src0_sel:BYTE_0 src1_sel:DWORD
	v_or_b32_sdwa v6, v15, v6 dst_sel:WORD_1 dst_unused:UNUSED_PAD src0_sel:BYTE_0 src1_sel:DWORD
	v_or_b32_sdwa v2, v2, v6 dst_sel:DWORD dst_unused:UNUSED_PAD src0_sel:WORD_0 src1_sel:DWORD
	global_store_dwordx4 v[22:23], v[2:5], off
	v_add_co_u32_e32 v22, vcc, s7, v22
	v_mov_b32_e32 v2, s6
	v_add_u32_e32 v20, s33, v20
	v_addc_co_u32_e32 v23, vcc, v23, v2, vcc
	v_cmp_le_i32_e32 vcc, s93, v20
	v_mov_b32_e32 v2, s9
	s_or_b64 s[0:1], vcc, s[0:1]
	v_add_co_u32_e32 v24, vcc, s8, v24
	v_addc_co_u32_e32 v25, vcc, v25, v2, vcc
	s_andn2_b64 exec, exec, s[0:1]
	s_cbranch_execz .LBB1_85
.LBB1_22:                               ; =>This Inner Loop Header: Depth=1
	global_load_dwordx4 v[14:17], v[24:25], off
	global_load_dwordx4 v[10:13], v[24:25], off offset:16
	global_load_dwordx4 v[2:5], v[24:25], off offset:48
	;; [unrolled: 1-line block ×3, first 2 shown]
	v_bfrev_b32_e32 v19, -2
	s_waitcnt vmcnt(3)
	v_mul_f32_e32 v14, v18, v14
	v_rndne_f32_e32 v21, v14
	v_cmp_nle_f32_e32 vcc, s10, v21
	v_bfrev_b32_e32 v14, -2
	s_and_saveexec_b64 s[2:3], vcc
	s_cbranch_execz .LBB1_26
; %bb.23:                               ;   in Loop: Header=BB1_22 Depth=1
	v_cmp_nge_f32_e32 vcc, s11, v21
	v_bfrev_b32_e32 v14, 1
	s_and_saveexec_b64 s[4:5], vcc
; %bb.24:                               ;   in Loop: Header=BB1_22 Depth=1
	v_cvt_i32_f32_e32 v14, v21
; %bb.25:                               ;   in Loop: Header=BB1_22 Depth=1
	s_or_b64 exec, exec, s[4:5]
.LBB1_26:                               ;   in Loop: Header=BB1_22 Depth=1
	s_or_b64 exec, exec, s[2:3]
	v_mul_f32_e32 v15, v18, v15
	v_rndne_f32_e32 v15, v15
	v_cmp_nle_f32_e32 vcc, s10, v15
	s_and_saveexec_b64 s[2:3], vcc
	s_cbranch_execz .LBB1_30
; %bb.27:                               ;   in Loop: Header=BB1_22 Depth=1
	v_cmp_nge_f32_e32 vcc, s11, v15
	v_bfrev_b32_e32 v19, 1
	s_and_saveexec_b64 s[4:5], vcc
; %bb.28:                               ;   in Loop: Header=BB1_22 Depth=1
	v_cvt_i32_f32_e32 v19, v15
; %bb.29:                               ;   in Loop: Header=BB1_22 Depth=1
	s_or_b64 exec, exec, s[4:5]
.LBB1_30:                               ;   in Loop: Header=BB1_22 Depth=1
	s_or_b64 exec, exec, s[2:3]
	v_mul_f32_e32 v15, v18, v16
	v_rndne_f32_e32 v21, v15
	v_cmp_nle_f32_e32 vcc, s10, v21
	v_bfrev_b32_e32 v16, -2
	v_bfrev_b32_e32 v15, -2
	s_and_saveexec_b64 s[2:3], vcc
	s_cbranch_execz .LBB1_34
; %bb.31:                               ;   in Loop: Header=BB1_22 Depth=1
	v_cmp_nge_f32_e32 vcc, s11, v21
	v_bfrev_b32_e32 v15, 1
	s_and_saveexec_b64 s[4:5], vcc
; %bb.32:                               ;   in Loop: Header=BB1_22 Depth=1
	v_cvt_i32_f32_e32 v15, v21
; %bb.33:                               ;   in Loop: Header=BB1_22 Depth=1
	s_or_b64 exec, exec, s[4:5]
.LBB1_34:                               ;   in Loop: Header=BB1_22 Depth=1
	s_or_b64 exec, exec, s[2:3]
	v_mul_f32_e32 v17, v18, v17
	v_rndne_f32_e32 v17, v17
	v_cmp_nle_f32_e32 vcc, s10, v17
	s_and_saveexec_b64 s[2:3], vcc
	s_cbranch_execz .LBB1_38
; %bb.35:                               ;   in Loop: Header=BB1_22 Depth=1
	v_cmp_nge_f32_e32 vcc, s11, v17
	v_bfrev_b32_e32 v16, 1
	s_and_saveexec_b64 s[4:5], vcc
; %bb.36:                               ;   in Loop: Header=BB1_22 Depth=1
	v_cvt_i32_f32_e32 v16, v17
; %bb.37:                               ;   in Loop: Header=BB1_22 Depth=1
	s_or_b64 exec, exec, s[4:5]
.LBB1_38:                               ;   in Loop: Header=BB1_22 Depth=1
	s_or_b64 exec, exec, s[2:3]
	s_waitcnt vmcnt(2)
	v_mul_f32_e32 v10, v18, v10
	v_rndne_f32_e32 v21, v10
	v_cmp_nle_f32_e32 vcc, s10, v21
	v_bfrev_b32_e32 v17, -2
	v_bfrev_b32_e32 v10, -2
	s_and_saveexec_b64 s[2:3], vcc
	s_cbranch_execz .LBB1_42
; %bb.39:                               ;   in Loop: Header=BB1_22 Depth=1
	v_cmp_nge_f32_e32 vcc, s11, v21
	v_bfrev_b32_e32 v10, 1
	s_and_saveexec_b64 s[4:5], vcc
; %bb.40:                               ;   in Loop: Header=BB1_22 Depth=1
	v_cvt_i32_f32_e32 v10, v21
; %bb.41:                               ;   in Loop: Header=BB1_22 Depth=1
	s_or_b64 exec, exec, s[4:5]
.LBB1_42:                               ;   in Loop: Header=BB1_22 Depth=1
	s_or_b64 exec, exec, s[2:3]
	v_mul_f32_e32 v11, v18, v11
	v_rndne_f32_e32 v11, v11
	v_cmp_nle_f32_e32 vcc, s10, v11
	s_and_saveexec_b64 s[2:3], vcc
	s_cbranch_execz .LBB1_46
; %bb.43:                               ;   in Loop: Header=BB1_22 Depth=1
	v_cmp_nge_f32_e32 vcc, s11, v11
	v_bfrev_b32_e32 v17, 1
	s_and_saveexec_b64 s[4:5], vcc
; %bb.44:                               ;   in Loop: Header=BB1_22 Depth=1
	v_cvt_i32_f32_e32 v17, v11
; %bb.45:                               ;   in Loop: Header=BB1_22 Depth=1
	s_or_b64 exec, exec, s[4:5]
.LBB1_46:                               ;   in Loop: Header=BB1_22 Depth=1
	s_or_b64 exec, exec, s[2:3]
	v_mul_f32_e32 v11, v18, v12
	v_rndne_f32_e32 v21, v11
	v_cmp_nle_f32_e32 vcc, s10, v21
	v_bfrev_b32_e32 v12, -2
	v_bfrev_b32_e32 v11, -2
	s_and_saveexec_b64 s[2:3], vcc
	s_cbranch_execz .LBB1_50
; %bb.47:                               ;   in Loop: Header=BB1_22 Depth=1
	v_cmp_nge_f32_e32 vcc, s11, v21
	v_bfrev_b32_e32 v11, 1
	s_and_saveexec_b64 s[4:5], vcc
; %bb.48:                               ;   in Loop: Header=BB1_22 Depth=1
	v_cvt_i32_f32_e32 v11, v21
; %bb.49:                               ;   in Loop: Header=BB1_22 Depth=1
	s_or_b64 exec, exec, s[4:5]
.LBB1_50:                               ;   in Loop: Header=BB1_22 Depth=1
	s_or_b64 exec, exec, s[2:3]
	v_mul_f32_e32 v13, v18, v13
	v_rndne_f32_e32 v13, v13
	v_cmp_nle_f32_e32 vcc, s10, v13
	s_and_saveexec_b64 s[2:3], vcc
	s_cbranch_execz .LBB1_54
; %bb.51:                               ;   in Loop: Header=BB1_22 Depth=1
	v_cmp_nge_f32_e32 vcc, s11, v13
	v_bfrev_b32_e32 v12, 1
	s_and_saveexec_b64 s[4:5], vcc
; %bb.52:                               ;   in Loop: Header=BB1_22 Depth=1
	v_cvt_i32_f32_e32 v12, v13
; %bb.53:                               ;   in Loop: Header=BB1_22 Depth=1
	s_or_b64 exec, exec, s[4:5]
.LBB1_54:                               ;   in Loop: Header=BB1_22 Depth=1
	s_or_b64 exec, exec, s[2:3]
	s_waitcnt vmcnt(0)
	v_mul_f32_e32 v6, v18, v6
	v_rndne_f32_e32 v21, v6
	v_cmp_nle_f32_e32 vcc, s10, v21
	v_bfrev_b32_e32 v13, -2
	v_bfrev_b32_e32 v6, -2
	s_and_saveexec_b64 s[2:3], vcc
	s_cbranch_execz .LBB1_58
; %bb.55:                               ;   in Loop: Header=BB1_22 Depth=1
	v_cmp_nge_f32_e32 vcc, s11, v21
	v_bfrev_b32_e32 v6, 1
	s_and_saveexec_b64 s[4:5], vcc
; %bb.56:                               ;   in Loop: Header=BB1_22 Depth=1
	v_cvt_i32_f32_e32 v6, v21
; %bb.57:                               ;   in Loop: Header=BB1_22 Depth=1
	s_or_b64 exec, exec, s[4:5]
.LBB1_58:                               ;   in Loop: Header=BB1_22 Depth=1
	s_or_b64 exec, exec, s[2:3]
	v_mul_f32_e32 v7, v18, v7
	v_rndne_f32_e32 v7, v7
	v_cmp_nle_f32_e32 vcc, s10, v7
	s_and_saveexec_b64 s[2:3], vcc
	s_cbranch_execz .LBB1_62
; %bb.59:                               ;   in Loop: Header=BB1_22 Depth=1
	v_cmp_nge_f32_e32 vcc, s11, v7
	v_bfrev_b32_e32 v13, 1
	s_and_saveexec_b64 s[4:5], vcc
; %bb.60:                               ;   in Loop: Header=BB1_22 Depth=1
	v_cvt_i32_f32_e32 v13, v7
; %bb.61:                               ;   in Loop: Header=BB1_22 Depth=1
	s_or_b64 exec, exec, s[4:5]
.LBB1_62:                               ;   in Loop: Header=BB1_22 Depth=1
	s_or_b64 exec, exec, s[2:3]
	v_mul_f32_e32 v7, v18, v8
	v_rndne_f32_e32 v21, v7
	v_cmp_nle_f32_e32 vcc, s10, v21
	v_bfrev_b32_e32 v8, -2
	v_bfrev_b32_e32 v7, -2
	s_and_saveexec_b64 s[2:3], vcc
	s_cbranch_execz .LBB1_66
; %bb.63:                               ;   in Loop: Header=BB1_22 Depth=1
	v_cmp_nge_f32_e32 vcc, s11, v21
	v_bfrev_b32_e32 v7, 1
	s_and_saveexec_b64 s[4:5], vcc
; %bb.64:                               ;   in Loop: Header=BB1_22 Depth=1
	v_cvt_i32_f32_e32 v7, v21
; %bb.65:                               ;   in Loop: Header=BB1_22 Depth=1
	s_or_b64 exec, exec, s[4:5]
.LBB1_66:                               ;   in Loop: Header=BB1_22 Depth=1
	s_or_b64 exec, exec, s[2:3]
	v_mul_f32_e32 v9, v18, v9
	v_rndne_f32_e32 v9, v9
	v_cmp_nle_f32_e32 vcc, s10, v9
	s_and_saveexec_b64 s[2:3], vcc
	s_cbranch_execz .LBB1_70
; %bb.67:                               ;   in Loop: Header=BB1_22 Depth=1
	v_cmp_nge_f32_e32 vcc, s11, v9
	v_bfrev_b32_e32 v8, 1
	s_and_saveexec_b64 s[4:5], vcc
; %bb.68:                               ;   in Loop: Header=BB1_22 Depth=1
	v_cvt_i32_f32_e32 v8, v9
; %bb.69:                               ;   in Loop: Header=BB1_22 Depth=1
	s_or_b64 exec, exec, s[4:5]
.LBB1_70:                               ;   in Loop: Header=BB1_22 Depth=1
	s_or_b64 exec, exec, s[2:3]
	;; [unrolled: 32-line block ×3, first 2 shown]
	v_mul_f32_e32 v3, v18, v4
	v_rndne_f32_e32 v21, v3
	v_cmp_nle_f32_e32 vcc, s10, v21
	v_bfrev_b32_e32 v3, -2
	v_bfrev_b32_e32 v4, -2
	s_and_saveexec_b64 s[2:3], vcc
	s_cbranch_execz .LBB1_82
; %bb.79:                               ;   in Loop: Header=BB1_22 Depth=1
	v_cmp_nge_f32_e32 vcc, s11, v21
	v_bfrev_b32_e32 v4, 1
	s_and_saveexec_b64 s[4:5], vcc
; %bb.80:                               ;   in Loop: Header=BB1_22 Depth=1
	v_cvt_i32_f32_e32 v4, v21
; %bb.81:                               ;   in Loop: Header=BB1_22 Depth=1
	s_or_b64 exec, exec, s[4:5]
.LBB1_82:                               ;   in Loop: Header=BB1_22 Depth=1
	s_or_b64 exec, exec, s[2:3]
	v_mul_f32_e32 v5, v18, v5
	v_rndne_f32_e32 v5, v5
	v_cmp_nle_f32_e32 vcc, s10, v5
	s_and_saveexec_b64 s[2:3], vcc
	s_cbranch_execz .LBB1_21
; %bb.83:                               ;   in Loop: Header=BB1_22 Depth=1
	v_cmp_nge_f32_e32 vcc, s11, v5
	v_bfrev_b32_e32 v3, 1
	s_and_saveexec_b64 s[4:5], vcc
	s_cbranch_execz .LBB1_20
; %bb.84:                               ;   in Loop: Header=BB1_22 Depth=1
	v_cvt_i32_f32_e32 v3, v5
	s_branch .LBB1_20
.LBB1_85:
	s_or_b64 exec, exec, s[78:79]
	v_lshl_add_u32 v2, s93, 4, v0
	v_cmp_gt_i32_e32 vcc, s88, v2
	s_and_saveexec_b64 s[2:3], vcc
	s_cbranch_execz .LBB1_97
; %bb.86:
	v_cvt_f32_u32_e32 v1, s33
	v_add_u32_e32 v3, s33, v2
	v_mov_b32_e32 v4, s33
	s_sub_i32 s4, 0, s33
	v_rcp_iflag_f32_e32 v1, v1
	v_cmp_gt_i32_e32 vcc, s88, v3
	v_max_i32_e32 v5, s88, v3
	v_addc_co_u32_e64 v3, s[0:1], v2, v4, vcc
	v_mul_f32_e32 v1, 0x4f7ffffe, v1
	v_cvt_u32_f32_e32 v1, v1
	v_sub_u32_e32 v3, v5, v3
	s_cmp_eq_u32 s33, 1
	v_mul_lo_u32 v4, s4, v1
	v_mul_hi_u32 v4, v1, v4
	v_add_u32_e32 v1, v1, v4
	v_mul_hi_u32 v1, v3, v1
	v_mul_lo_u32 v4, v1, s33
	v_sub_u32_e32 v3, v3, v4
	v_add_u32_e32 v5, 1, v1
	v_cmp_le_u32_e64 s[0:1], s33, v3
	v_subrev_u32_e32 v4, s33, v3
	v_cndmask_b32_e64 v1, v1, v5, s[0:1]
	v_cndmask_b32_e64 v3, v3, v4, s[0:1]
	v_add_u32_e32 v4, 1, v1
	v_cmp_le_u32_e64 s[0:1], s33, v3
	v_cndmask_b32_e64 v1, v1, v4, s[0:1]
	v_addc_co_u32_e32 v1, vcc, 1, v1, vcc
	v_cmp_lt_u32_e32 vcc, 1, v1
	s_cselect_b64 s[0:1], -1, 0
	s_and_b64 s[6:7], vcc, s[0:1]
	s_mov_b64 s[4:5], -1
	s_and_saveexec_b64 s[0:1], s[6:7]
	s_cbranch_execz .LBB1_90
; %bb.87:
	v_and_b32_e32 v3, -2, v1
	v_mov_b32_e32 v19, v18
	s_mov_b32 s6, s84
	s_mov_b64 s[4:5], 0
	v_mov_b32_e32 v6, s16
	v_mov_b32_e32 v7, s13
	s_mov_b32 s7, 0x4f000000
	s_mov_b32 s8, 0xcf000000
	v_mov_b32_e32 v8, 0xcf000000
	v_bfrev_b32_e32 v9, -2
	s_movk_i32 s9, 0xff80
	v_mov_b32_e32 v10, 0x7f
	v_mov_b32_e32 v4, v2
	;; [unrolled: 1-line block ×3, first 2 shown]
.LBB1_88:                               ; =>This Inner Loop Header: Depth=1
	v_ashrrev_i32_e32 v5, 31, v4
	v_lshlrev_b64 v[12:13], 2, v[4:5]
	v_add_co_u32_e32 v12, vcc, s89, v12
	v_addc_co_u32_e32 v13, vcc, v7, v13, vcc
	global_load_dwordx2 v[12:13], v[12:13], off
	v_add_co_u32_e32 v14, vcc, s90, v4
	v_add_u32_e32 v11, -2, v11
	v_addc_co_u32_e32 v15, vcc, v6, v5, vcc
	v_cmp_eq_u32_e32 vcc, 0, v11
	s_or_b64 s[4:5], vcc, s[4:5]
	v_add_u32_e32 v4, 2, v4
	s_waitcnt vmcnt(0)
	v_pk_mul_f32 v[12:13], v[18:19], v[12:13]
	v_rndne_f32_e32 v5, v12
	v_rndne_f32_e32 v12, v13
	v_cmp_nge_f32_e32 vcc, s8, v5
	v_cndmask_b32_e32 v13, v8, v5, vcc
	v_cmp_nge_f32_e32 vcc, s8, v12
	v_cvt_i32_f32_e32 v13, v13
	v_cndmask_b32_e32 v16, v8, v12, vcc
	v_cvt_i32_f32_e32 v16, v16
	v_cmp_nle_f32_e32 vcc, s7, v5
	v_cndmask_b32_e32 v5, v9, v13, vcc
	v_cmp_nle_f32_e32 vcc, s7, v12
	v_cndmask_b32_e32 v12, v9, v16, vcc
	v_add_u32_e32 v12, s6, v12
	v_add_u32_e32 v5, s84, v5
	v_med3_i32 v12, v12, s9, v10
	v_med3_i32 v5, v5, s9, v10
	v_lshlrev_b16_e32 v12, 8, v12
	v_or_b32_sdwa v5, v5, v12 dst_sel:DWORD dst_unused:UNUSED_PAD src0_sel:BYTE_0 src1_sel:DWORD
	global_store_short v[14:15], v5, off
	s_andn2_b64 exec, exec, s[4:5]
	s_cbranch_execnz .LBB1_88
; %bb.89:
	s_or_b64 exec, exec, s[4:5]
	v_cmp_ne_u32_e32 vcc, v1, v3
	v_add_u32_e32 v2, v2, v3
	s_orn2_b64 s[4:5], vcc, exec
.LBB1_90:
	s_or_b64 exec, exec, s[0:1]
	s_and_b64 exec, exec, s[4:5]
	s_cbranch_execz .LBB1_97
; %bb.91:
	s_add_u32 s0, s68, s76
	s_addc_u32 s1, s69, s77
	v_ashrrev_i32_e32 v3, 31, v2
	s_add_u32 s0, s64, s0
	v_lshlrev_b64 v[4:5], 2, v[2:3]
	s_addc_u32 s1, s65, s1
	s_lshl_b32 s10, s33, 2
	v_add_co_u32_e32 v4, vcc, s0, v4
	s_add_u32 s0, s74, s70
	v_mov_b32_e32 v1, s1
	s_addc_u32 s1, s75, s71
	s_add_u32 s0, s66, s0
	v_addc_co_u32_e32 v5, vcc, v1, v5, vcc
	s_addc_u32 s1, s67, s1
	s_mov_b32 s4, 0
	v_mov_b32_e32 v6, s1
	v_add_co_u32_e32 v1, vcc, s0, v2
	v_addc_co_u32_e32 v3, vcc, v6, v3, vcc
	s_mov_b64 s[0:1], 0
	s_mov_b32 s11, 0x4f000000
	s_mov_b32 s12, 0xcf000000
	s_movk_i32 s13, 0xff80
	v_mov_b32_e32 v6, 0x7f
	v_mov_b32_e32 v7, s4
	s_mov_b64 s[4:5], 0
	s_branch .LBB1_94
.LBB1_92:                               ;   in Loop: Header=BB1_94 Depth=1
	s_or_b64 exec, exec, s[8:9]
.LBB1_93:                               ;   in Loop: Header=BB1_94 Depth=1
	s_or_b64 exec, exec, s[6:7]
	v_mov_b32_e32 v9, s5
	v_add_co_u32_e32 v10, vcc, s4, v1
	v_add_u32_e32 v8, s84, v8
	v_addc_co_u32_e32 v11, vcc, v3, v9, vcc
	v_med3_i32 v8, v8, s13, v6
	s_add_u32 s4, s4, s33
	global_store_byte v[10:11], v8, off
	v_add_u32_e32 v8, s4, v2
	s_addc_u32 s5, s5, 0
	v_cmp_le_i32_e32 vcc, s88, v8
	s_or_b64 s[0:1], vcc, s[0:1]
	v_add_co_u32_e32 v4, vcc, s10, v4
	v_addc_co_u32_e32 v5, vcc, v5, v7, vcc
	s_andn2_b64 exec, exec, s[0:1]
	s_cbranch_execz .LBB1_97
.LBB1_94:                               ; =>This Inner Loop Header: Depth=1
	global_load_dword v8, v[4:5], off
	s_waitcnt vmcnt(0)
	v_mul_f32_e32 v8, v18, v8
	v_rndne_f32_e32 v9, v8
	v_cmp_nle_f32_e32 vcc, s11, v9
	v_bfrev_b32_e32 v8, -2
	s_and_saveexec_b64 s[6:7], vcc
	s_cbranch_execz .LBB1_93
; %bb.95:                               ;   in Loop: Header=BB1_94 Depth=1
	v_cmp_nge_f32_e32 vcc, s12, v9
	v_bfrev_b32_e32 v8, 1
	s_and_saveexec_b64 s[8:9], vcc
	s_cbranch_execz .LBB1_92
; %bb.96:                               ;   in Loop: Header=BB1_94 Depth=1
	v_cvt_i32_f32_e32 v8, v9
	s_branch .LBB1_92
.LBB1_97:
	s_or_b64 exec, exec, s[2:3]
	s_mov_b64 s[0:1], 0
.LBB1_98:
	s_and_b64 vcc, exec, s[0:1]
	s_cbranch_vccz .LBB1_171
; %bb.99:
	s_ashr_i32 s78, s87, 4
	v_cmp_gt_i32_e32 vcc, s78, v0
	s_and_saveexec_b64 s[0:1], vcc
	s_cbranch_execz .LBB1_171
; %bb.100:
	v_cvt_f32_u32_e32 v1, s33
	v_add_u32_e32 v2, s33, v0
	v_mov_b32_e32 v3, s33
	s_sub_i32 s2, 0, s33
	v_rcp_iflag_f32_e32 v1, v1
	v_cmp_gt_i32_e32 vcc, s78, v2
	v_max_i32_e32 v4, s78, v2
	v_addc_co_u32_e64 v2, s[0:1], v0, v3, vcc
	v_mul_f32_e32 v1, 0x4f7ffffe, v1
	v_cvt_u32_f32_e32 v1, v1
	v_sub_u32_e32 v2, v4, v2
	s_cmp_eq_u32 s33, 1
	v_mul_lo_u32 v3, s2, v1
	v_mul_hi_u32 v3, v1, v3
	v_add_u32_e32 v1, v1, v3
	v_mul_hi_u32 v1, v2, v1
	v_mul_lo_u32 v3, v1, s33
	v_sub_u32_e32 v2, v2, v3
	v_add_u32_e32 v4, 1, v1
	v_cmp_le_u32_e64 s[0:1], s33, v2
	v_subrev_u32_e32 v3, s33, v2
	v_cndmask_b32_e64 v1, v1, v4, s[0:1]
	v_cndmask_b32_e64 v2, v2, v3, s[0:1]
	v_add_u32_e32 v3, 1, v1
	v_cmp_le_u32_e64 s[0:1], s33, v2
	v_cndmask_b32_e64 v1, v1, v3, s[0:1]
	v_addc_co_u32_e32 v10, vcc, 1, v1, vcc
	v_cmp_lt_u32_e32 vcc, 1, v10
	s_cselect_b64 s[0:1], -1, 0
	s_and_b64 s[2:3], vcc, s[0:1]
	s_mov_b64 s[0:1], -1
	s_and_saveexec_b64 s[74:75], s[2:3]
	s_cbranch_execz .LBB1_104
; %bb.101:
	v_and_b32_e32 v11, -2, v10
	v_add_u32_e32 v1, 1, v0
	v_mov_b32_e32 v19, v18
	s_mov_b32 s79, s84
	s_mov_b64 s[76:77], 0
	v_mov_b32_e32 v12, s86
	s_mov_b32 s80, 0x4f000000
	s_mov_b32 s81, 0xcf000000
	v_mov_b32_e32 v13, 0xcf000000
	v_bfrev_b32_e32 v14, -2
	s_movk_i32 s82, 0xff80
	v_mov_b32_e32 v15, 0x7f
	v_mov_b32_e32 v16, s73
	v_mov_b32_e32 v3, 0
	v_mov_b32_e32 v17, v11
	v_pk_mov_b32 v[4:5], v[0:1], v[0:1] op_sel:[0,1]
.LBB1_102:                              ; =>This Inner Loop Header: Depth=1
	v_mov_b32_e32 v2, v4
	v_lshlrev_b64 v[8:9], 6, v[2:3]
	v_mov_b32_e32 v6, v5
	v_mov_b32_e32 v7, v3
	v_add_co_u32_e64 v52, s[0:1], s85, v8
	v_lshlrev_b64 v[20:21], 6, v[6:7]
	v_addc_co_u32_e64 v53, s[0:1], v12, v9, s[0:1]
	v_add_co_u32_e64 v54, s[0:1], s85, v20
	v_lshlrev_b64 v[22:23], 4, v[2:3]
	v_addc_co_u32_e64 v55, s[0:1], v12, v21, s[0:1]
	v_add_co_u32_e64 v8, s[0:1], s72, v22
	v_addc_co_u32_e64 v9, s[0:1], v16, v23, s[0:1]
	global_load_dwordx4 v[20:23], v[52:53], off
	global_load_dwordx4 v[24:27], v[54:55], off
	global_load_dwordx4 v[28:31], v[52:53], off offset:16
	global_load_dwordx4 v[32:35], v[54:55], off offset:16
	;; [unrolled: 1-line block ×6, first 2 shown]
	v_add_u32_e32 v17, -2, v17
	v_cmp_eq_u32_e32 vcc, 0, v17
	s_or_b64 s[76:77], vcc, s[76:77]
	v_lshlrev_b64 v[6:7], 4, v[6:7]
	v_add_co_u32_e64 v6, s[0:1], s72, v6
	v_addc_co_u32_e64 v7, s[0:1], v16, v7, s[0:1]
	v_add_u32_e32 v5, 2, v5
	v_add_u32_e32 v4, 2, v4
	s_waitcnt vmcnt(7)
	v_mov_b32_e32 v52, v20
	s_waitcnt vmcnt(6)
	v_mov_b32_e32 v53, v24
	v_mov_b32_e32 v24, v21
	v_mov_b32_e32 v20, v22
	v_mov_b32_e32 v21, v26
	v_mov_b32_e32 v26, v23
	s_waitcnt vmcnt(5)
	v_mov_b32_e32 v22, v28
	s_waitcnt vmcnt(4)
	v_mov_b32_e32 v23, v32
	v_mov_b32_e32 v32, v29
	v_mov_b32_e32 v28, v30
	v_mov_b32_e32 v29, v34
	v_mov_b32_e32 v34, v31
	;; [unrolled: 8-line block ×4, first 2 shown]
	v_pk_mul_f32 v[46:47], v[18:19], v[52:53]
	v_rndne_f32_e32 v1, v46
	v_pk_mul_f32 v[24:25], v[18:19], v[24:25]
	v_pk_mul_f32 v[48:49], v[18:19], v[48:49]
	;; [unrolled: 1-line block ×3, first 2 shown]
	v_rndne_f32_e32 v2, v47
	v_cmp_nge_f32_e32 vcc, s81, v1
	v_rndne_f32_e32 v24, v24
	v_rndne_f32_e32 v46, v48
	;; [unrolled: 1-line block ×3, first 2 shown]
	v_cndmask_b32_e32 v50, v13, v1, vcc
	v_cmp_nge_f32_e32 vcc, s81, v2
	v_pk_mul_f32 v[20:21], v[18:19], v[20:21]
	v_rndne_f32_e32 v25, v25
	v_rndne_f32_e32 v47, v49
	;; [unrolled: 1-line block ×3, first 2 shown]
	v_cndmask_b32_e32 v51, v13, v2, vcc
	v_cmp_nge_f32_e32 vcc, s81, v24
	v_rndne_f32_e32 v20, v20
	v_cndmask_b32_e32 v52, v13, v24, vcc
	v_cmp_nge_f32_e32 vcc, s81, v25
	v_pk_mul_f32 v[26:27], v[18:19], v[26:27]
	v_rndne_f32_e32 v21, v21
	v_cndmask_b32_e32 v53, v13, v25, vcc
	v_cmp_nge_f32_e32 vcc, s81, v20
	v_rndne_f32_e32 v26, v26
	v_cndmask_b32_e32 v54, v13, v20, vcc
	v_cmp_nge_f32_e32 vcc, s81, v21
	v_pk_mul_f32 v[22:23], v[18:19], v[22:23]
	v_rndne_f32_e32 v27, v27
	;; [unrolled: 7-line block ×3, first 2 shown]
	v_cndmask_b32_e32 v57, v13, v27, vcc
	v_cmp_nge_f32_e32 vcc, s81, v22
	v_pk_mul_f32 v[28:29], v[18:19], v[28:29]
	v_rndne_f32_e32 v32, v32
	v_cndmask_b32_e32 v58, v13, v22, vcc
	v_cmp_nge_f32_e32 vcc, s81, v23
	v_pk_mul_f32 v[34:35], v[18:19], v[34:35]
	v_rndne_f32_e32 v33, v33
	v_rndne_f32_e32 v28, v28
	;; [unrolled: 1-line block ×3, first 2 shown]
	v_cndmask_b32_e32 v59, v13, v23, vcc
	v_cmp_nge_f32_e32 vcc, s81, v32
	v_rndne_f32_e32 v34, v34
	v_cndmask_b32_e32 v60, v13, v32, vcc
	v_cmp_nge_f32_e32 vcc, s81, v33
	v_cmp_nge_f32_e64 s[0:1], s81, v28
	v_cmp_nge_f32_e64 s[2:3], s81, v29
	v_pk_mul_f32 v[30:31], v[18:19], v[30:31]
	v_rndne_f32_e32 v35, v35
	v_cndmask_b32_e32 v61, v13, v33, vcc
	v_cmp_nle_f32_e32 vcc, s80, v2
	v_cndmask_b32_e64 v2, v13, v28, s[0:1]
	v_cmp_nle_f32_e64 s[0:1], s80, v25
	v_cndmask_b32_e64 v25, v13, v29, s[2:3]
	v_cmp_nge_f32_e64 s[2:3], s81, v34
	v_rndne_f32_e32 v30, v30
	v_cmp_nle_f32_e64 s[4:5], s80, v24
	v_cndmask_b32_e64 v24, v13, v34, s[2:3]
	v_cmp_nge_f32_e64 s[2:3], s81, v35
	v_pk_mul_f32 v[40:41], v[18:19], v[40:41]
	v_rndne_f32_e32 v31, v31
	v_cmp_nle_f32_e64 s[6:7], s80, v21
	v_cndmask_b32_e64 v21, v13, v35, s[2:3]
	v_cmp_nge_f32_e64 s[2:3], s81, v30
	v_rndne_f32_e32 v40, v40
	v_cmp_nle_f32_e64 s[8:9], s80, v20
	v_cndmask_b32_e64 v20, v13, v30, s[2:3]
	v_cmp_nge_f32_e64 s[2:3], s81, v31
	v_pk_mul_f32 v[36:37], v[18:19], v[36:37]
	v_rndne_f32_e32 v41, v41
	;; [unrolled: 9-line block ×4, first 2 shown]
	v_cmp_nle_f32_e64 s[18:19], s80, v33
	v_cndmask_b32_e64 v33, v13, v37, s[2:3]
	v_cmp_nge_f32_e64 s[2:3], s81, v42
	v_rndne_f32_e32 v38, v38
	v_cmp_nle_f32_e64 s[20:21], s80, v32
	v_cndmask_b32_e64 v32, v13, v42, s[2:3]
	v_cmp_nge_f32_e64 s[2:3], s81, v43
	v_rndne_f32_e32 v39, v39
	v_cmp_nle_f32_e64 s[22:23], s80, v29
	v_cndmask_b32_e64 v29, v13, v43, s[2:3]
	v_cmp_nge_f32_e64 s[2:3], s81, v38
	v_cmp_nle_f32_e64 s[24:25], s80, v28
	v_cndmask_b32_e64 v28, v13, v38, s[2:3]
	v_cmp_nge_f32_e64 s[2:3], s81, v39
	v_pk_mul_f32 v[44:45], v[18:19], v[44:45]
	v_cmp_nle_f32_e64 s[26:27], s80, v35
	v_cndmask_b32_e64 v35, v13, v39, s[2:3]
	v_cmp_nge_f32_e64 s[2:3], s81, v46
	v_rndne_f32_e32 v44, v44
	v_cmp_nle_f32_e64 s[28:29], s80, v34
	v_cndmask_b32_e64 v34, v13, v46, s[2:3]
	v_cmp_nge_f32_e64 s[2:3], s81, v47
	v_rndne_f32_e32 v45, v45
	v_cmp_nle_f32_e64 s[30:31], s80, v31
	v_cndmask_b32_e64 v31, v13, v47, s[2:3]
	v_cmp_nge_f32_e64 s[2:3], s81, v44
	v_cmp_nle_f32_e64 s[34:35], s80, v30
	v_cndmask_b32_e64 v30, v13, v44, s[2:3]
	v_cmp_nge_f32_e64 s[2:3], s81, v45
	;; [unrolled: 3-line block ×4, first 2 shown]
	v_cmp_nle_f32_e64 s[40:41], s80, v37
	v_cndmask_b32_e64 v37, v13, v49, s[2:3]
	v_cvt_i32_f32_e32 v53, v53
	v_cvt_i32_f32_e32 v57, v57
	;; [unrolled: 1-line block ×18, first 2 shown]
	v_cmp_nle_f32_e64 s[2:3], s80, v36
	v_cvt_i32_f32_e32 v35, v35
	v_cvt_i32_f32_e32 v36, v41
	;; [unrolled: 1-line block ×11, first 2 shown]
	v_cmp_nle_f32_e64 s[48:49], s80, v38
	v_cvt_i32_f32_e32 v34, v34
	v_cvt_i32_f32_e32 v30, v30
	;; [unrolled: 1-line block ×3, first 2 shown]
	v_cmp_nle_f32_e64 s[42:43], s80, v43
	v_cmp_nle_f32_e64 s[50:51], s80, v47
	;; [unrolled: 1-line block ×6, first 2 shown]
	v_cndmask_b32_e64 v41, v14, v53, s[0:1]
	v_cndmask_b32_e64 v45, v14, v57, s[10:11]
	;; [unrolled: 1-line block ×8, first 2 shown]
	v_cmp_nle_f32_e64 s[44:45], s80, v42
	v_cmp_nle_f32_e64 s[52:53], s80, v46
	;; [unrolled: 1-line block ×4, first 2 shown]
	v_cndmask_b32_e64 v1, v14, v50, s[62:63]
	v_cndmask_b32_e32 v39, v14, v51, vcc
	v_cndmask_b32_e64 v43, v14, v55, s[6:7]
	v_cndmask_b32_e64 v47, v14, v59, s[14:15]
	v_cndmask_b32_e64 v2, v14, v2, s[24:25]
	v_cndmask_b32_e64 v25, v14, v25, s[22:23]
	v_cndmask_b32_e64 v20, v14, v20, s[34:35]
	v_cndmask_b32_e64 v27, v14, v27, s[30:31]
	v_cndmask_b32_e64 v22, v14, v22, s[2:3]
	v_cndmask_b32_e64 v33, v14, v33, s[40:41]
	v_cndmask_b32_e64 v35, v14, v35, s[46:47]
	v_cndmask_b32_e64 v36, v14, v36, s[54:55]
	v_add_u32_e32 v41, s79, v41
	v_add_u32_e32 v45, s79, v45
	;; [unrolled: 1-line block ×8, first 2 shown]
	v_cndmask_b32_e64 v40, v14, v52, s[4:5]
	v_cndmask_b32_e64 v42, v14, v54, s[8:9]
	;; [unrolled: 1-line block ×12, first 2 shown]
	v_add_u32_e32 v39, s79, v39
	v_add_u32_e32 v1, s84, v1
	;; [unrolled: 1-line block ×12, first 2 shown]
	v_med3_i32 v41, v41, s82, v15
	v_med3_i32 v45, v45, s82, v15
	;; [unrolled: 1-line block ×8, first 2 shown]
	v_add_u32_e32 v40, s84, v40
	v_add_u32_e32 v42, s84, v42
	;; [unrolled: 1-line block ×12, first 2 shown]
	v_med3_i32 v1, v1, s82, v15
	v_med3_i32 v39, v39, s82, v15
	;; [unrolled: 1-line block ×12, first 2 shown]
	v_lshlrev_b16_e32 v41, 8, v41
	v_lshlrev_b16_e32 v45, 8, v45
	;; [unrolled: 1-line block ×8, first 2 shown]
	v_med3_i32 v40, v40, s82, v15
	v_med3_i32 v42, v42, s82, v15
	;; [unrolled: 1-line block ×12, first 2 shown]
	global_store_byte v[8:9], v1, off
	global_store_byte v[8:9], v40, off offset:1
	global_store_byte v[8:9], v42, off offset:2
	;; [unrolled: 1-line block ×15, first 2 shown]
	v_or_b32_sdwa v1, v39, v41 dst_sel:DWORD dst_unused:UNUSED_PAD src0_sel:BYTE_0 src1_sel:DWORD
	v_or_b32_sdwa v2, v43, v45 dst_sel:WORD_1 dst_unused:UNUSED_PAD src0_sel:BYTE_0 src1_sel:DWORD
	v_or_b32_sdwa v8, v47, v49 dst_sel:DWORD dst_unused:UNUSED_PAD src0_sel:BYTE_0 src1_sel:DWORD
	v_or_b32_sdwa v9, v25, v21 dst_sel:WORD_1 dst_unused:UNUSED_PAD src0_sel:BYTE_0 src1_sel:DWORD
	;; [unrolled: 2-line block ×4, first 2 shown]
	v_or_b32_sdwa v23, v22, v23 dst_sel:DWORD dst_unused:UNUSED_PAD src0_sel:WORD_0 src1_sel:DWORD
	v_or_b32_sdwa v22, v20, v21 dst_sel:DWORD dst_unused:UNUSED_PAD src0_sel:WORD_0 src1_sel:DWORD
	;; [unrolled: 1-line block ×4, first 2 shown]
	global_store_dwordx4 v[6:7], v[20:23], off
	s_andn2_b64 exec, exec, s[76:77]
	s_cbranch_execnz .LBB1_102
; %bb.103:
	s_or_b64 exec, exec, s[76:77]
	v_cmp_ne_u32_e32 vcc, v10, v11
	v_add_u32_e32 v0, v0, v11
	s_orn2_b64 s[0:1], vcc, exec
.LBB1_104:
	s_or_b64 exec, exec, s[74:75]
	s_and_b64 exec, exec, s[0:1]
	s_cbranch_execz .LBB1_171
; %bb.105:
	v_mov_b32_e32 v1, 0
	s_add_u32 s0, s66, s70
	v_lshlrev_b64 v[2:3], 4, v[0:1]
	s_addc_u32 s1, s67, s71
	s_lshl_b32 s7, s33, 4
	v_mov_b32_e32 v4, s1
	v_add_co_u32_e32 v20, vcc, s0, v2
	s_add_u32 s0, s64, s68
	v_addc_co_u32_e32 v21, vcc, v4, v3, vcc
	v_lshlrev_b64 v[2:3], 6, v[0:1]
	s_addc_u32 s1, s65, s69
	s_mov_b32 s6, 0
	v_mov_b32_e32 v1, s1
	v_add_co_u32_e32 v22, vcc, s0, v2
	v_addc_co_u32_e32 v23, vcc, v1, v3, vcc
	s_lshl_b32 s8, s33, 6
	s_mov_b32 s9, s6
	s_mov_b64 s[0:1], 0
	s_mov_b32 s10, 0x4f000000
	s_mov_b32 s11, 0xcf000000
	s_movk_i32 s12, 0xff80
	v_mov_b32_e32 v1, 0x7f
	s_branch .LBB1_108
.LBB1_106:                              ;   in Loop: Header=BB1_108 Depth=1
	s_or_b64 exec, exec, s[4:5]
.LBB1_107:                              ;   in Loop: Header=BB1_108 Depth=1
	s_or_b64 exec, exec, s[2:3]
	v_add_u32_e32 v5, s84, v9
	v_add_u32_e32 v3, s84, v3
	;; [unrolled: 1-line block ×3, first 2 shown]
	v_med3_i32 v5, v5, s12, v1
	v_add_u32_e32 v2, s84, v2
	v_med3_i32 v3, v3, s12, v1
	v_med3_i32 v4, v4, s12, v1
	;; [unrolled: 1-line block ×3, first 2 shown]
	v_add_u32_e32 v8, s84, v8
	v_add_u32_e32 v9, s84, v13
	v_lshlrev_b16_e32 v5, 8, v5
	v_lshlrev_b16_e32 v3, 8, v3
	v_med3_i32 v8, v8, s12, v1
	v_add_u32_e32 v7, s84, v7
	v_med3_i32 v9, v9, s12, v1
	v_add_u32_e32 v6, s84, v6
	v_or_b32_sdwa v2, v2, v5 dst_sel:DWORD dst_unused:UNUSED_PAD src0_sel:BYTE_0 src1_sel:DWORD
	v_or_b32_sdwa v3, v4, v3 dst_sel:WORD_1 dst_unused:UNUSED_PAD src0_sel:BYTE_0 src1_sel:DWORD
	v_med3_i32 v7, v7, s12, v1
	v_med3_i32 v6, v6, s12, v1
	v_add_u32_e32 v12, s84, v12
	v_add_u32_e32 v13, s84, v17
	v_or_b32_sdwa v5, v2, v3 dst_sel:DWORD dst_unused:UNUSED_PAD src0_sel:WORD_0 src1_sel:DWORD
	v_lshlrev_b16_e32 v2, 8, v9
	v_lshlrev_b16_e32 v3, 8, v8
	v_med3_i32 v12, v12, s12, v1
	v_add_u32_e32 v11, s84, v11
	v_med3_i32 v13, v13, s12, v1
	v_add_u32_e32 v10, s84, v10
	v_or_b32_sdwa v2, v6, v2 dst_sel:DWORD dst_unused:UNUSED_PAD src0_sel:BYTE_0 src1_sel:DWORD
	v_or_b32_sdwa v3, v7, v3 dst_sel:WORD_1 dst_unused:UNUSED_PAD src0_sel:BYTE_0 src1_sel:DWORD
	v_med3_i32 v11, v11, s12, v1
	v_med3_i32 v10, v10, s12, v1
	v_add_u32_e32 v16, s84, v16
	v_add_u32_e32 v17, s84, v19
	v_or_b32_sdwa v4, v2, v3 dst_sel:DWORD dst_unused:UNUSED_PAD src0_sel:WORD_0 src1_sel:DWORD
	v_lshlrev_b16_e32 v2, 8, v13
	v_lshlrev_b16_e32 v3, 8, v12
	v_med3_i32 v16, v16, s12, v1
	v_add_u32_e32 v15, s84, v15
	v_med3_i32 v17, v17, s12, v1
	v_add_u32_e32 v14, s84, v14
	v_or_b32_sdwa v2, v10, v2 dst_sel:DWORD dst_unused:UNUSED_PAD src0_sel:BYTE_0 src1_sel:DWORD
	v_or_b32_sdwa v3, v11, v3 dst_sel:WORD_1 dst_unused:UNUSED_PAD src0_sel:BYTE_0 src1_sel:DWORD
	v_med3_i32 v15, v15, s12, v1
	v_med3_i32 v14, v14, s12, v1
	v_or_b32_sdwa v3, v2, v3 dst_sel:DWORD dst_unused:UNUSED_PAD src0_sel:WORD_0 src1_sel:DWORD
	v_lshlrev_b16_e32 v2, 8, v17
	v_lshlrev_b16_e32 v6, 8, v16
	v_or_b32_sdwa v2, v14, v2 dst_sel:DWORD dst_unused:UNUSED_PAD src0_sel:BYTE_0 src1_sel:DWORD
	v_or_b32_sdwa v6, v15, v6 dst_sel:WORD_1 dst_unused:UNUSED_PAD src0_sel:BYTE_0 src1_sel:DWORD
	v_or_b32_sdwa v2, v2, v6 dst_sel:DWORD dst_unused:UNUSED_PAD src0_sel:WORD_0 src1_sel:DWORD
	global_store_dwordx4 v[20:21], v[2:5], off
	v_add_co_u32_e32 v20, vcc, s7, v20
	v_mov_b32_e32 v2, s6
	v_add_u32_e32 v0, s33, v0
	v_addc_co_u32_e32 v21, vcc, v21, v2, vcc
	v_cmp_le_i32_e32 vcc, s78, v0
	v_mov_b32_e32 v2, s9
	s_or_b64 s[0:1], vcc, s[0:1]
	v_add_co_u32_e32 v22, vcc, s8, v22
	v_addc_co_u32_e32 v23, vcc, v23, v2, vcc
	s_andn2_b64 exec, exec, s[0:1]
	s_cbranch_execz .LBB1_171
.LBB1_108:                              ; =>This Inner Loop Header: Depth=1
	global_load_dwordx4 v[14:17], v[22:23], off
	global_load_dwordx4 v[10:13], v[22:23], off offset:16
	global_load_dwordx4 v[2:5], v[22:23], off offset:48
	;; [unrolled: 1-line block ×3, first 2 shown]
	v_bfrev_b32_e32 v19, -2
	s_waitcnt vmcnt(3)
	v_mul_f32_e32 v14, v18, v14
	v_rndne_f32_e32 v24, v14
	v_cmp_nle_f32_e32 vcc, s10, v24
	v_bfrev_b32_e32 v14, -2
	s_and_saveexec_b64 s[2:3], vcc
	s_cbranch_execz .LBB1_112
; %bb.109:                              ;   in Loop: Header=BB1_108 Depth=1
	v_cmp_nge_f32_e32 vcc, s11, v24
	v_bfrev_b32_e32 v14, 1
	s_and_saveexec_b64 s[4:5], vcc
; %bb.110:                              ;   in Loop: Header=BB1_108 Depth=1
	v_cvt_i32_f32_e32 v14, v24
; %bb.111:                              ;   in Loop: Header=BB1_108 Depth=1
	s_or_b64 exec, exec, s[4:5]
.LBB1_112:                              ;   in Loop: Header=BB1_108 Depth=1
	s_or_b64 exec, exec, s[2:3]
	v_mul_f32_e32 v15, v18, v15
	v_rndne_f32_e32 v15, v15
	v_cmp_nle_f32_e32 vcc, s10, v15
	s_and_saveexec_b64 s[2:3], vcc
	s_cbranch_execz .LBB1_116
; %bb.113:                              ;   in Loop: Header=BB1_108 Depth=1
	v_cmp_nge_f32_e32 vcc, s11, v15
	v_bfrev_b32_e32 v19, 1
	s_and_saveexec_b64 s[4:5], vcc
; %bb.114:                              ;   in Loop: Header=BB1_108 Depth=1
	v_cvt_i32_f32_e32 v19, v15
; %bb.115:                              ;   in Loop: Header=BB1_108 Depth=1
	s_or_b64 exec, exec, s[4:5]
.LBB1_116:                              ;   in Loop: Header=BB1_108 Depth=1
	s_or_b64 exec, exec, s[2:3]
	v_mul_f32_e32 v15, v18, v16
	v_rndne_f32_e32 v24, v15
	v_cmp_nle_f32_e32 vcc, s10, v24
	v_bfrev_b32_e32 v16, -2
	v_bfrev_b32_e32 v15, -2
	s_and_saveexec_b64 s[2:3], vcc
	s_cbranch_execz .LBB1_120
; %bb.117:                              ;   in Loop: Header=BB1_108 Depth=1
	v_cmp_nge_f32_e32 vcc, s11, v24
	v_bfrev_b32_e32 v15, 1
	s_and_saveexec_b64 s[4:5], vcc
; %bb.118:                              ;   in Loop: Header=BB1_108 Depth=1
	v_cvt_i32_f32_e32 v15, v24
; %bb.119:                              ;   in Loop: Header=BB1_108 Depth=1
	s_or_b64 exec, exec, s[4:5]
.LBB1_120:                              ;   in Loop: Header=BB1_108 Depth=1
	s_or_b64 exec, exec, s[2:3]
	v_mul_f32_e32 v17, v18, v17
	v_rndne_f32_e32 v17, v17
	v_cmp_nle_f32_e32 vcc, s10, v17
	s_and_saveexec_b64 s[2:3], vcc
	s_cbranch_execz .LBB1_124
; %bb.121:                              ;   in Loop: Header=BB1_108 Depth=1
	v_cmp_nge_f32_e32 vcc, s11, v17
	v_bfrev_b32_e32 v16, 1
	s_and_saveexec_b64 s[4:5], vcc
; %bb.122:                              ;   in Loop: Header=BB1_108 Depth=1
	v_cvt_i32_f32_e32 v16, v17
; %bb.123:                              ;   in Loop: Header=BB1_108 Depth=1
	s_or_b64 exec, exec, s[4:5]
.LBB1_124:                              ;   in Loop: Header=BB1_108 Depth=1
	s_or_b64 exec, exec, s[2:3]
	s_waitcnt vmcnt(2)
	v_mul_f32_e32 v10, v18, v10
	v_rndne_f32_e32 v24, v10
	v_cmp_nle_f32_e32 vcc, s10, v24
	v_bfrev_b32_e32 v17, -2
	v_bfrev_b32_e32 v10, -2
	s_and_saveexec_b64 s[2:3], vcc
	s_cbranch_execz .LBB1_128
; %bb.125:                              ;   in Loop: Header=BB1_108 Depth=1
	v_cmp_nge_f32_e32 vcc, s11, v24
	v_bfrev_b32_e32 v10, 1
	s_and_saveexec_b64 s[4:5], vcc
; %bb.126:                              ;   in Loop: Header=BB1_108 Depth=1
	v_cvt_i32_f32_e32 v10, v24
; %bb.127:                              ;   in Loop: Header=BB1_108 Depth=1
	s_or_b64 exec, exec, s[4:5]
.LBB1_128:                              ;   in Loop: Header=BB1_108 Depth=1
	s_or_b64 exec, exec, s[2:3]
	v_mul_f32_e32 v11, v18, v11
	v_rndne_f32_e32 v11, v11
	v_cmp_nle_f32_e32 vcc, s10, v11
	s_and_saveexec_b64 s[2:3], vcc
	s_cbranch_execz .LBB1_132
; %bb.129:                              ;   in Loop: Header=BB1_108 Depth=1
	v_cmp_nge_f32_e32 vcc, s11, v11
	v_bfrev_b32_e32 v17, 1
	s_and_saveexec_b64 s[4:5], vcc
; %bb.130:                              ;   in Loop: Header=BB1_108 Depth=1
	v_cvt_i32_f32_e32 v17, v11
; %bb.131:                              ;   in Loop: Header=BB1_108 Depth=1
	s_or_b64 exec, exec, s[4:5]
.LBB1_132:                              ;   in Loop: Header=BB1_108 Depth=1
	s_or_b64 exec, exec, s[2:3]
	v_mul_f32_e32 v11, v18, v12
	v_rndne_f32_e32 v24, v11
	v_cmp_nle_f32_e32 vcc, s10, v24
	v_bfrev_b32_e32 v12, -2
	v_bfrev_b32_e32 v11, -2
	s_and_saveexec_b64 s[2:3], vcc
	s_cbranch_execz .LBB1_136
; %bb.133:                              ;   in Loop: Header=BB1_108 Depth=1
	v_cmp_nge_f32_e32 vcc, s11, v24
	v_bfrev_b32_e32 v11, 1
	s_and_saveexec_b64 s[4:5], vcc
; %bb.134:                              ;   in Loop: Header=BB1_108 Depth=1
	v_cvt_i32_f32_e32 v11, v24
; %bb.135:                              ;   in Loop: Header=BB1_108 Depth=1
	s_or_b64 exec, exec, s[4:5]
.LBB1_136:                              ;   in Loop: Header=BB1_108 Depth=1
	s_or_b64 exec, exec, s[2:3]
	v_mul_f32_e32 v13, v18, v13
	v_rndne_f32_e32 v13, v13
	v_cmp_nle_f32_e32 vcc, s10, v13
	s_and_saveexec_b64 s[2:3], vcc
	s_cbranch_execz .LBB1_140
; %bb.137:                              ;   in Loop: Header=BB1_108 Depth=1
	v_cmp_nge_f32_e32 vcc, s11, v13
	v_bfrev_b32_e32 v12, 1
	s_and_saveexec_b64 s[4:5], vcc
; %bb.138:                              ;   in Loop: Header=BB1_108 Depth=1
	v_cvt_i32_f32_e32 v12, v13
; %bb.139:                              ;   in Loop: Header=BB1_108 Depth=1
	s_or_b64 exec, exec, s[4:5]
.LBB1_140:                              ;   in Loop: Header=BB1_108 Depth=1
	s_or_b64 exec, exec, s[2:3]
	s_waitcnt vmcnt(0)
	v_mul_f32_e32 v6, v18, v6
	v_rndne_f32_e32 v24, v6
	v_cmp_nle_f32_e32 vcc, s10, v24
	v_bfrev_b32_e32 v13, -2
	v_bfrev_b32_e32 v6, -2
	s_and_saveexec_b64 s[2:3], vcc
	s_cbranch_execz .LBB1_144
; %bb.141:                              ;   in Loop: Header=BB1_108 Depth=1
	v_cmp_nge_f32_e32 vcc, s11, v24
	v_bfrev_b32_e32 v6, 1
	s_and_saveexec_b64 s[4:5], vcc
; %bb.142:                              ;   in Loop: Header=BB1_108 Depth=1
	v_cvt_i32_f32_e32 v6, v24
; %bb.143:                              ;   in Loop: Header=BB1_108 Depth=1
	s_or_b64 exec, exec, s[4:5]
.LBB1_144:                              ;   in Loop: Header=BB1_108 Depth=1
	s_or_b64 exec, exec, s[2:3]
	v_mul_f32_e32 v7, v18, v7
	v_rndne_f32_e32 v7, v7
	v_cmp_nle_f32_e32 vcc, s10, v7
	s_and_saveexec_b64 s[2:3], vcc
	s_cbranch_execz .LBB1_148
; %bb.145:                              ;   in Loop: Header=BB1_108 Depth=1
	v_cmp_nge_f32_e32 vcc, s11, v7
	v_bfrev_b32_e32 v13, 1
	s_and_saveexec_b64 s[4:5], vcc
; %bb.146:                              ;   in Loop: Header=BB1_108 Depth=1
	v_cvt_i32_f32_e32 v13, v7
; %bb.147:                              ;   in Loop: Header=BB1_108 Depth=1
	s_or_b64 exec, exec, s[4:5]
.LBB1_148:                              ;   in Loop: Header=BB1_108 Depth=1
	s_or_b64 exec, exec, s[2:3]
	v_mul_f32_e32 v7, v18, v8
	v_rndne_f32_e32 v24, v7
	v_cmp_nle_f32_e32 vcc, s10, v24
	v_bfrev_b32_e32 v8, -2
	v_bfrev_b32_e32 v7, -2
	s_and_saveexec_b64 s[2:3], vcc
	s_cbranch_execz .LBB1_152
; %bb.149:                              ;   in Loop: Header=BB1_108 Depth=1
	v_cmp_nge_f32_e32 vcc, s11, v24
	v_bfrev_b32_e32 v7, 1
	s_and_saveexec_b64 s[4:5], vcc
; %bb.150:                              ;   in Loop: Header=BB1_108 Depth=1
	v_cvt_i32_f32_e32 v7, v24
; %bb.151:                              ;   in Loop: Header=BB1_108 Depth=1
	s_or_b64 exec, exec, s[4:5]
.LBB1_152:                              ;   in Loop: Header=BB1_108 Depth=1
	s_or_b64 exec, exec, s[2:3]
	v_mul_f32_e32 v9, v18, v9
	v_rndne_f32_e32 v9, v9
	v_cmp_nle_f32_e32 vcc, s10, v9
	s_and_saveexec_b64 s[2:3], vcc
	s_cbranch_execz .LBB1_156
; %bb.153:                              ;   in Loop: Header=BB1_108 Depth=1
	v_cmp_nge_f32_e32 vcc, s11, v9
	v_bfrev_b32_e32 v8, 1
	s_and_saveexec_b64 s[4:5], vcc
; %bb.154:                              ;   in Loop: Header=BB1_108 Depth=1
	v_cvt_i32_f32_e32 v8, v9
; %bb.155:                              ;   in Loop: Header=BB1_108 Depth=1
	s_or_b64 exec, exec, s[4:5]
.LBB1_156:                              ;   in Loop: Header=BB1_108 Depth=1
	s_or_b64 exec, exec, s[2:3]
	;; [unrolled: 32-line block ×3, first 2 shown]
	v_mul_f32_e32 v3, v18, v4
	v_rndne_f32_e32 v24, v3
	v_cmp_nle_f32_e32 vcc, s10, v24
	v_bfrev_b32_e32 v3, -2
	v_bfrev_b32_e32 v4, -2
	s_and_saveexec_b64 s[2:3], vcc
	s_cbranch_execz .LBB1_168
; %bb.165:                              ;   in Loop: Header=BB1_108 Depth=1
	v_cmp_nge_f32_e32 vcc, s11, v24
	v_bfrev_b32_e32 v4, 1
	s_and_saveexec_b64 s[4:5], vcc
; %bb.166:                              ;   in Loop: Header=BB1_108 Depth=1
	v_cvt_i32_f32_e32 v4, v24
; %bb.167:                              ;   in Loop: Header=BB1_108 Depth=1
	s_or_b64 exec, exec, s[4:5]
.LBB1_168:                              ;   in Loop: Header=BB1_108 Depth=1
	s_or_b64 exec, exec, s[2:3]
	v_mul_f32_e32 v5, v18, v5
	v_rndne_f32_e32 v5, v5
	v_cmp_nle_f32_e32 vcc, s10, v5
	s_and_saveexec_b64 s[2:3], vcc
	s_cbranch_execz .LBB1_107
; %bb.169:                              ;   in Loop: Header=BB1_108 Depth=1
	v_cmp_nge_f32_e32 vcc, s11, v5
	v_bfrev_b32_e32 v3, 1
	s_and_saveexec_b64 s[4:5], vcc
	s_cbranch_execz .LBB1_106
; %bb.170:                              ;   in Loop: Header=BB1_108 Depth=1
	v_cvt_i32_f32_e32 v3, v5
	s_branch .LBB1_106
.LBB1_171:
	s_endpgm
	.section	.rodata,"a",@progbits
	.p2align	6, 0x0
	.amdhsa_kernel _ZN4vllm35static_scaled_int8_azp_quant_kernelIffiEEvPKT_PaPKT0_PKT1_i
		.amdhsa_group_segment_fixed_size 0
		.amdhsa_private_segment_fixed_size 0
		.amdhsa_kernarg_size 296
		.amdhsa_user_sgpr_count 6
		.amdhsa_user_sgpr_private_segment_buffer 1
		.amdhsa_user_sgpr_dispatch_ptr 0
		.amdhsa_user_sgpr_queue_ptr 0
		.amdhsa_user_sgpr_kernarg_segment_ptr 1
		.amdhsa_user_sgpr_dispatch_id 0
		.amdhsa_user_sgpr_flat_scratch_init 0
		.amdhsa_user_sgpr_kernarg_preload_length 0
		.amdhsa_user_sgpr_kernarg_preload_offset 0
		.amdhsa_user_sgpr_private_segment_size 0
		.amdhsa_uses_dynamic_stack 0
		.amdhsa_system_sgpr_private_segment_wavefront_offset 0
		.amdhsa_system_sgpr_workgroup_id_x 1
		.amdhsa_system_sgpr_workgroup_id_y 0
		.amdhsa_system_sgpr_workgroup_id_z 0
		.amdhsa_system_sgpr_workgroup_info 0
		.amdhsa_system_vgpr_workitem_id 0
		.amdhsa_next_free_vgpr 63
		.amdhsa_next_free_sgpr 96
		.amdhsa_accum_offset 64
		.amdhsa_reserve_vcc 1
		.amdhsa_reserve_flat_scratch 0
		.amdhsa_float_round_mode_32 0
		.amdhsa_float_round_mode_16_64 0
		.amdhsa_float_denorm_mode_32 3
		.amdhsa_float_denorm_mode_16_64 3
		.amdhsa_dx10_clamp 1
		.amdhsa_ieee_mode 1
		.amdhsa_fp16_overflow 0
		.amdhsa_tg_split 0
		.amdhsa_exception_fp_ieee_invalid_op 0
		.amdhsa_exception_fp_denorm_src 0
		.amdhsa_exception_fp_ieee_div_zero 0
		.amdhsa_exception_fp_ieee_overflow 0
		.amdhsa_exception_fp_ieee_underflow 0
		.amdhsa_exception_fp_ieee_inexact 0
		.amdhsa_exception_int_div_zero 0
	.end_amdhsa_kernel
	.section	.text._ZN4vllm35static_scaled_int8_azp_quant_kernelIffiEEvPKT_PaPKT0_PKT1_i,"axG",@progbits,_ZN4vllm35static_scaled_int8_azp_quant_kernelIffiEEvPKT_PaPKT0_PKT1_i,comdat
.Lfunc_end1:
	.size	_ZN4vllm35static_scaled_int8_azp_quant_kernelIffiEEvPKT_PaPKT0_PKT1_i, .Lfunc_end1-_ZN4vllm35static_scaled_int8_azp_quant_kernelIffiEEvPKT_PaPKT0_PKT1_i
                                        ; -- End function
	.section	.AMDGPU.csdata,"",@progbits
; Kernel info:
; codeLenInByte = 9524
; NumSgprs: 100
; NumVgprs: 63
; NumAgprs: 0
; TotalNumVgprs: 63
; ScratchSize: 0
; MemoryBound: 1
; FloatMode: 240
; IeeeMode: 1
; LDSByteSize: 0 bytes/workgroup (compile time only)
; SGPRBlocks: 12
; VGPRBlocks: 7
; NumSGPRsForWavesPerEU: 100
; NumVGPRsForWavesPerEU: 63
; AccumOffset: 64
; Occupancy: 8
; WaveLimiterHint : 0
; COMPUTE_PGM_RSRC2:SCRATCH_EN: 0
; COMPUTE_PGM_RSRC2:USER_SGPR: 6
; COMPUTE_PGM_RSRC2:TRAP_HANDLER: 0
; COMPUTE_PGM_RSRC2:TGID_X_EN: 1
; COMPUTE_PGM_RSRC2:TGID_Y_EN: 0
; COMPUTE_PGM_RSRC2:TGID_Z_EN: 0
; COMPUTE_PGM_RSRC2:TIDIG_COMP_CNT: 0
; COMPUTE_PGM_RSRC3_GFX90A:ACCUM_OFFSET: 15
; COMPUTE_PGM_RSRC3_GFX90A:TG_SPLIT: 0
	.section	.text._ZN4vllm31static_scaled_int8_quant_kernelIN3c104HalfEfEEvPKT_PaPKT0_i,"axG",@progbits,_ZN4vllm31static_scaled_int8_quant_kernelIN3c104HalfEfEEvPKT_PaPKT0_i,comdat
	.protected	_ZN4vllm31static_scaled_int8_quant_kernelIN3c104HalfEfEEvPKT_PaPKT0_i ; -- Begin function _ZN4vllm31static_scaled_int8_quant_kernelIN3c104HalfEfEEvPKT_PaPKT0_i
	.globl	_ZN4vllm31static_scaled_int8_quant_kernelIN3c104HalfEfEEvPKT_PaPKT0_i
	.p2align	8
	.type	_ZN4vllm31static_scaled_int8_quant_kernelIN3c104HalfEfEEvPKT_PaPKT0_i,@function
_ZN4vllm31static_scaled_int8_quant_kernelIN3c104HalfEfEEvPKT_PaPKT0_i: ; @_ZN4vllm31static_scaled_int8_quant_kernelIN3c104HalfEfEEvPKT_PaPKT0_i
; %bb.0:
	s_load_dword s26, s[4:5], 0x18
	s_load_dword s2, s[4:5], 0x2c
	s_load_dwordx2 s[0:1], s[4:5], 0x10
	s_load_dwordx4 s[8:11], s[4:5], 0x0
	s_waitcnt lgkmcnt(0)
	s_ashr_i32 s3, s26, 31
	s_mul_i32 s3, s3, s6
	s_load_dword s25, s[0:1], 0x0
	s_mul_hi_u32 s0, s26, s6
	s_add_i32 s13, s0, s3
	s_mul_i32 s12, s26, s6
	s_and_b32 s24, s2, 0xffff
	s_lshl_b64 s[6:7], s[12:13], 1
	s_add_u32 s27, s8, s6
	s_addc_u32 s28, s9, s7
	s_and_b32 s0, s27, 31
	s_mov_b32 s1, 0
	s_cmp_lg_u64 s[0:1], 0
	s_cselect_b64 s[0:1], -1, 0
	s_and_b32 s2, s26, 15
	s_cmp_lg_u32 s2, 0
	s_cselect_b64 s[2:3], -1, 0
	s_or_b64 s[2:3], s[2:3], s[0:1]
	s_mov_b64 s[0:1], -1
	s_and_b64 vcc, exec, s[2:3]
	s_cbranch_vccz .LBB2_21
; %bb.1:
	s_add_u32 s16, s10, s12
	s_addc_u32 s17, s11, s13
	s_sub_i32 s0, 0, s27
	v_cvt_f32_u32_e32 v1, s24
	s_bfe_u32 s0, s0, 0x40001
	s_min_i32 s14, s0, s26
	v_cmp_gt_i32_e32 vcc, s14, v0
	s_and_saveexec_b64 s[18:19], vcc
	s_cbranch_execz .LBB2_9
; %bb.2:
	v_rcp_iflag_f32_e32 v2, v1
	v_add_u32_e32 v3, s24, v0
	v_mov_b32_e32 v4, s24
	v_cmp_gt_i32_e32 vcc, s14, v3
	v_mul_f32_e32 v2, 0x4f7ffffe, v2
	v_cvt_u32_f32_e32 v2, v2
	v_max_i32_e32 v5, s14, v3
	v_addc_co_u32_e64 v3, s[0:1], v0, v4, vcc
	s_sub_i32 s0, 0, s24
	v_mul_lo_u32 v4, s0, v2
	v_mul_hi_u32 v4, v2, v4
	v_sub_u32_e32 v3, v5, v3
	v_add_u32_e32 v2, v2, v4
	v_mul_hi_u32 v2, v3, v2
	v_mul_lo_u32 v4, v2, s24
	v_sub_u32_e32 v3, v3, v4
	v_add_u32_e32 v4, 1, v2
	v_cmp_le_u32_e64 s[0:1], s24, v3
	v_cndmask_b32_e64 v2, v2, v4, s[0:1]
	v_subrev_u32_e32 v4, s24, v3
	v_cndmask_b32_e64 v3, v3, v4, s[0:1]
	v_add_u32_e32 v4, 1, v2
	v_cmp_le_u32_e64 s[0:1], s24, v3
	v_cndmask_b32_e64 v2, v2, v4, s[0:1]
	v_addc_co_u32_e32 v4, vcc, 1, v2, vcc
	s_cmp_eq_u32 s24, 1
	v_cmp_lt_u32_e32 vcc, 3, v4
	s_cselect_b64 s[0:1], -1, 0
	s_and_b64 s[2:3], vcc, s[0:1]
	s_mov_b64 s[0:1], -1
	v_mov_b32_e32 v2, v0
	s_and_saveexec_b64 s[20:21], s[2:3]
	s_cbranch_execz .LBB2_6
; %bb.3:
	v_and_b32_e32 v5, -4, v4
	s_waitcnt lgkmcnt(0)
	s_mov_b32 s15, s25
	s_mov_b32 s29, s25
	s_mov_b32 s30, s25
	s_mov_b64 s[22:23], 0
	v_mov_b32_e32 v3, 0
	v_mov_b32_e32 v6, s28
	s_mov_b32 s31, 0x42fe0000
	v_mov_b32_e32 v7, 0x42fe0000
	s_mov_b32 s33, 0xc3000000
	v_mov_b32_e32 v8, 0xc3000000
	v_mov_b32_e32 v2, v0
	;; [unrolled: 1-line block ×3, first 2 shown]
.LBB2_4:                                ; =>This Inner Loop Header: Depth=1
	v_lshlrev_b64 v[10:11], 1, v[2:3]
	v_add_co_u32_e32 v10, vcc, s27, v10
	v_addc_co_u32_e32 v11, vcc, v6, v11, vcc
	global_load_dwordx2 v[10:11], v[10:11], off
	v_add_u32_e32 v9, -4, v9
	s_waitcnt vmcnt(0)
	v_cvt_f32_f16_e32 v13, v10
	v_cvt_f32_f16_sdwa v10, v10 dst_sel:DWORD dst_unused:UNUSED_PAD src0_sel:WORD_1
	v_cvt_f32_f16_sdwa v12, v11 dst_sel:DWORD dst_unused:UNUSED_PAD src0_sel:WORD_1
	v_cvt_f32_f16_e32 v11, v11
	v_div_scale_f32 v14, s[0:1], s25, s25, v13
	v_div_scale_f32 v16, s[0:1], s15, s15, v10
	v_rcp_f32_e32 v22, v14
	v_div_scale_f32 v18, s[2:3], s29, s29, v11
	v_rcp_f32_e32 v23, v16
	;; [unrolled: 2-line block ×3, first 2 shown]
	v_rcp_f32_e32 v25, v20
	v_fma_f32 v26, -v14, v22, 1.0
	v_div_scale_f32 v15, vcc, v13, s25, v13
	v_fma_f32 v27, -v16, v23, 1.0
	v_fmac_f32_e32 v22, v26, v22
	v_div_scale_f32 v17, s[0:1], v10, s15, v10
	v_fma_f32 v28, -v18, v24, 1.0
	v_fmac_f32_e32 v23, v27, v23
	v_mul_f32_e32 v26, v15, v22
	v_div_scale_f32 v19, s[2:3], v11, s29, v11
	v_fma_f32 v29, -v20, v25, 1.0
	v_fmac_f32_e32 v24, v28, v24
	v_mul_f32_e32 v27, v17, v23
	v_fma_f32 v30, -v14, v26, v15
	v_div_scale_f32 v21, s[4:5], v12, s30, v12
	v_fmac_f32_e32 v25, v29, v25
	v_mul_f32_e32 v28, v19, v24
	v_fma_f32 v31, -v16, v27, v17
	v_fmac_f32_e32 v26, v30, v22
	v_mul_f32_e32 v29, v21, v25
	v_fma_f32 v32, -v18, v28, v19
	v_fmac_f32_e32 v27, v31, v23
	v_fma_f32 v14, -v14, v26, v15
	v_fma_f32 v33, -v20, v29, v21
	v_fmac_f32_e32 v28, v32, v24
	v_fma_f32 v15, -v16, v27, v17
	v_div_fmas_f32 v14, v14, v22, v26
	s_mov_b64 vcc, s[0:1]
	v_fmac_f32_e32 v29, v33, v25
	v_fma_f32 v16, -v18, v28, v19
	v_div_fixup_f32 v13, v14, s25, v13
	v_div_fmas_f32 v14, v15, v23, v27
	s_mov_b64 vcc, s[2:3]
	v_fma_f32 v17, -v20, v29, v21
	v_div_fixup_f32 v10, v14, s15, v10
	v_div_fmas_f32 v14, v16, v24, v28
	v_rndne_f32_e32 v13, v13
	s_mov_b64 vcc, s[4:5]
	v_div_fixup_f32 v11, v14, s29, v11
	v_div_fmas_f32 v14, v17, v25, v29
	v_rndne_f32_e32 v10, v10
	v_cmp_nlt_f32_e32 vcc, s31, v13
	v_cndmask_b32_e32 v15, v7, v13, vcc
	v_cmp_nlt_f32_e32 vcc, s31, v10
	v_div_fixup_f32 v12, v14, s30, v12
	v_rndne_f32_e32 v11, v11
	v_cndmask_b32_e32 v14, v7, v10, vcc
	v_cmp_ngt_f32_e32 vcc, s33, v13
	v_cndmask_b32_e32 v13, v8, v15, vcc
	v_cmp_nlt_f32_e32 vcc, s31, v11
	v_rndne_f32_e32 v12, v12
	v_cndmask_b32_e32 v15, v7, v11, vcc
	v_cmp_ngt_f32_e32 vcc, s33, v10
	v_cndmask_b32_e32 v10, v8, v14, vcc
	v_cmp_nlt_f32_e32 vcc, s31, v12
	v_cndmask_b32_e32 v14, v7, v12, vcc
	v_cmp_ngt_f32_e32 vcc, s33, v11
	v_cndmask_b32_e32 v11, v8, v15, vcc
	v_cmp_ngt_f32_e32 vcc, s33, v12
	v_cndmask_b32_e32 v12, v8, v14, vcc
	v_cvt_i32_f32_e32 v13, v13
	v_cvt_i32_f32_sdwa v10, v10 dst_sel:BYTE_1 dst_unused:UNUSED_PAD src0_sel:DWORD
	v_cvt_i32_f32_e32 v11, v11
	v_cvt_i32_f32_sdwa v12, v12 dst_sel:BYTE_1 dst_unused:UNUSED_PAD src0_sel:DWORD
	v_cmp_eq_u32_e32 vcc, 0, v9
	v_or_b32_sdwa v10, v13, v10 dst_sel:DWORD dst_unused:UNUSED_PAD src0_sel:BYTE_0 src1_sel:DWORD
	s_or_b64 s[22:23], vcc, s[22:23]
	v_or_b32_sdwa v11, v11, v12 dst_sel:WORD_1 dst_unused:UNUSED_PAD src0_sel:BYTE_0 src1_sel:DWORD
	v_or_b32_sdwa v10, v10, v11 dst_sel:DWORD dst_unused:UNUSED_PAD src0_sel:WORD_0 src1_sel:DWORD
	global_store_dword v2, v10, s[16:17]
	v_add_u32_e32 v2, 4, v2
	s_andn2_b64 exec, exec, s[22:23]
	s_cbranch_execnz .LBB2_4
; %bb.5:
	s_or_b64 exec, exec, s[22:23]
	v_cmp_ne_u32_e32 vcc, v4, v5
	v_add_u32_e32 v2, v0, v5
	s_orn2_b64 s[0:1], vcc, exec
.LBB2_6:
	s_or_b64 exec, exec, s[20:21]
	s_and_b64 exec, exec, s[0:1]
	s_cbranch_execz .LBB2_9
; %bb.7:
	v_mov_b32_e32 v3, 0
	s_add_u32 s1, s8, s6
	v_lshlrev_b64 v[4:5], 1, v[2:3]
	s_addc_u32 s2, s9, s7
	s_mov_b32 s0, 0
	v_mov_b32_e32 v6, s2
	v_add_co_u32_e32 v4, vcc, s1, v4
	v_addc_co_u32_e32 v5, vcc, v6, v5, vcc
	s_lshl_b32 s4, s24, 1
	s_mov_b64 s[2:3], 0
	v_mov_b32_e32 v6, s17
	s_mov_b32 s5, 0x42fe0000
	v_mov_b32_e32 v7, 0x42fe0000
	s_mov_b32 s15, 0xc3000000
	v_mov_b32_e32 v8, 0xc3000000
	v_mov_b32_e32 v9, s0
	;; [unrolled: 1-line block ×3, first 2 shown]
.LBB2_8:                                ; =>This Inner Loop Header: Depth=1
	global_load_ushort v11, v[4:5], off
	v_add_co_u32_e32 v12, vcc, s16, v2
	v_addc_co_u32_e32 v13, vcc, v6, v3, vcc
	v_add_co_u32_e32 v2, vcc, s24, v2
	v_addc_co_u32_e32 v3, vcc, v3, v9, vcc
	v_add_co_u32_e64 v4, s[0:1], s4, v4
	s_waitcnt vmcnt(0)
	v_cvt_f32_f16_e32 v11, v11
	s_waitcnt lgkmcnt(0)
	v_div_scale_f32 v14, s[20:21], s25, s25, v11
	v_rcp_f32_e32 v16, v14
	v_div_scale_f32 v15, vcc, v11, s25, v11
	v_fma_f32 v17, -v14, v16, 1.0
	v_fmac_f32_e32 v16, v17, v16
	v_mul_f32_e32 v17, v15, v16
	v_fma_f32 v18, -v14, v17, v15
	v_fmac_f32_e32 v17, v18, v16
	v_fma_f32 v14, -v14, v17, v15
	v_div_fmas_f32 v14, v14, v16, v17
	v_div_fixup_f32 v11, v14, s25, v11
	v_rndne_f32_e32 v11, v11
	v_cmp_nlt_f32_e32 vcc, s5, v11
	v_cndmask_b32_e32 v14, v7, v11, vcc
	v_cmp_ngt_f32_e32 vcc, s15, v11
	v_cndmask_b32_e32 v11, v8, v14, vcc
	v_cvt_i32_f32_e32 v11, v11
	v_addc_co_u32_e64 v5, vcc, v5, v10, s[0:1]
	v_cmp_le_i32_e32 vcc, s14, v2
	s_or_b64 s[2:3], vcc, s[2:3]
	global_store_byte v[12:13], v11, off
	s_andn2_b64 exec, exec, s[2:3]
	s_cbranch_execnz .LBB2_8
.LBB2_9:
	s_or_b64 exec, exec, s[18:19]
	s_sub_i32 s22, s26, s14
	s_ashr_i32 s0, s22, 31
	s_lshr_b32 s0, s0, 28
	s_add_i32 s0, s22, s0
	s_ashr_i32 s4, s0, 4
	s_ashr_i32 s15, s14, 31
	v_cmp_gt_i32_e32 vcc, s4, v0
	s_and_saveexec_b64 s[0:1], vcc
	s_cbranch_execz .LBB2_12
; %bb.10:
	s_add_u32 s2, s14, s12
	s_addc_u32 s3, s15, s13
	s_add_u32 s2, s10, s2
	v_lshlrev_b32_e32 v2, 4, v0
	s_addc_u32 s3, s11, s3
	v_mov_b32_e32 v3, s3
	v_add_co_u32_e32 v10, vcc, s2, v2
	s_lshl_b32 s5, s24, 4
	s_lshl_b64 s[2:3], s[14:15], 1
	s_add_u32 s2, s8, s2
	s_addc_u32 s3, s9, s3
	s_add_u32 s2, s2, s6
	v_addc_co_u32_e32 v11, vcc, 0, v3, vcc
	v_lshlrev_b32_e32 v2, 5, v0
	s_addc_u32 s3, s3, s7
	s_mov_b32 s21, 0
	v_mov_b32_e32 v3, s3
	v_add_co_u32_e32 v12, vcc, s2, v2
	v_addc_co_u32_e32 v13, vcc, 0, v3, vcc
	s_lshl_b32 s18, s24, 5
	s_mov_b64 s[2:3], 0
	s_mov_b32 s19, 0x42fe0000
	v_mov_b32_e32 v14, 0x42fe0000
	s_mov_b32 s20, 0xc3000000
	v_mov_b32_e32 v15, 0xc3000000
	v_mov_b32_e32 v16, s21
	;; [unrolled: 1-line block ×4, first 2 shown]
.LBB2_11:                               ; =>This Inner Loop Header: Depth=1
	global_load_dwordx4 v[6:9], v[12:13], off
	global_load_dwordx4 v[2:5], v[12:13], off offset:16
	v_add_u32_e32 v18, s24, v18
	s_waitcnt vmcnt(1)
	v_cvt_f32_f16_e32 v19, v6
	v_cvt_f32_f16_sdwa v6, v6 dst_sel:DWORD dst_unused:UNUSED_PAD src0_sel:WORD_1
	s_waitcnt lgkmcnt(0)
	v_div_scale_f32 v20, s[30:31], s25, s25, v19
	v_rcp_f32_e32 v21, v20
	v_fma_f32 v22, -v20, v21, 1.0
	v_fmac_f32_e32 v21, v22, v21
	v_div_scale_f32 v22, vcc, v19, s25, v19
	v_mul_f32_e32 v23, v22, v21
	v_fma_f32 v24, -v20, v23, v22
	v_fmac_f32_e32 v23, v24, v21
	v_fma_f32 v20, -v20, v23, v22
	v_div_fmas_f32 v20, v20, v21, v23
	v_div_fixup_f32 v19, v20, s25, v19
	v_rndne_f32_e32 v19, v19
	v_cmp_nlt_f32_e32 vcc, s19, v19
	v_cndmask_b32_e32 v20, v14, v19, vcc
	v_cmp_ngt_f32_e32 vcc, s20, v19
	v_cndmask_b32_e32 v19, v15, v20, vcc
	v_div_scale_f32 v20, s[30:31], s25, s25, v6
	v_rcp_f32_e32 v21, v20
	v_cvt_i32_f32_e32 v19, v19
	v_fma_f32 v22, -v20, v21, 1.0
	v_fmac_f32_e32 v21, v22, v21
	v_div_scale_f32 v22, vcc, v6, s25, v6
	v_mul_f32_e32 v23, v22, v21
	v_fma_f32 v24, -v20, v23, v22
	v_fmac_f32_e32 v23, v24, v21
	v_fma_f32 v20, -v20, v23, v22
	v_div_fmas_f32 v20, v20, v21, v23
	v_div_fixup_f32 v6, v20, s25, v6
	v_rndne_f32_e32 v6, v6
	v_cmp_nlt_f32_e32 vcc, s19, v6
	v_cndmask_b32_e32 v20, v14, v6, vcc
	v_cmp_ngt_f32_e32 vcc, s20, v6
	v_cndmask_b32_e32 v6, v15, v20, vcc
	v_cvt_f32_f16_e32 v20, v7
	v_cvt_f32_f16_sdwa v7, v7 dst_sel:DWORD dst_unused:UNUSED_PAD src0_sel:WORD_1
	v_cvt_i32_f32_sdwa v6, v6 dst_sel:BYTE_1 dst_unused:UNUSED_PAD src0_sel:DWORD
	v_div_scale_f32 v21, s[30:31], s25, s25, v20
	v_rcp_f32_e32 v22, v21
	v_fma_f32 v23, -v21, v22, 1.0
	v_fmac_f32_e32 v22, v23, v22
	v_div_scale_f32 v23, vcc, v20, s25, v20
	v_mul_f32_e32 v24, v23, v22
	v_fma_f32 v25, -v21, v24, v23
	v_fmac_f32_e32 v24, v25, v22
	v_fma_f32 v21, -v21, v24, v23
	v_div_fmas_f32 v21, v21, v22, v24
	v_div_fixup_f32 v20, v21, s25, v20
	v_rndne_f32_e32 v20, v20
	v_cmp_nlt_f32_e32 vcc, s19, v20
	v_cndmask_b32_e32 v21, v14, v20, vcc
	v_cmp_ngt_f32_e32 vcc, s20, v20
	v_cndmask_b32_e32 v20, v15, v21, vcc
	v_div_scale_f32 v21, s[30:31], s25, s25, v7
	v_rcp_f32_e32 v22, v21
	v_cvt_i32_f32_e32 v20, v20
	v_fma_f32 v23, -v21, v22, 1.0
	v_fmac_f32_e32 v22, v23, v22
	v_div_scale_f32 v23, vcc, v7, s25, v7
	v_mul_f32_e32 v24, v23, v22
	v_fma_f32 v25, -v21, v24, v23
	v_fmac_f32_e32 v24, v25, v22
	v_fma_f32 v21, -v21, v24, v23
	v_div_fmas_f32 v21, v21, v22, v24
	v_div_fixup_f32 v7, v21, s25, v7
	v_rndne_f32_e32 v7, v7
	v_cmp_nlt_f32_e32 vcc, s19, v7
	v_cndmask_b32_e32 v21, v14, v7, vcc
	v_cmp_ngt_f32_e32 vcc, s20, v7
	v_cndmask_b32_e32 v7, v15, v21, vcc
	v_cvt_f32_f16_e32 v21, v8
	v_cvt_f32_f16_sdwa v8, v8 dst_sel:DWORD dst_unused:UNUSED_PAD src0_sel:WORD_1
	v_cvt_i32_f32_sdwa v7, v7 dst_sel:BYTE_1 dst_unused:UNUSED_PAD src0_sel:DWORD
	;; [unrolled: 36-line block ×3, first 2 shown]
	v_div_scale_f32 v23, s[30:31], s25, s25, v22
	v_rcp_f32_e32 v24, v23
	v_fma_f32 v25, -v23, v24, 1.0
	v_fmac_f32_e32 v24, v25, v24
	v_div_scale_f32 v25, vcc, v22, s25, v22
	v_mul_f32_e32 v26, v25, v24
	v_fma_f32 v27, -v23, v26, v25
	v_fmac_f32_e32 v26, v27, v24
	v_fma_f32 v23, -v23, v26, v25
	v_div_fmas_f32 v23, v23, v24, v26
	v_div_fixup_f32 v22, v23, s25, v22
	v_rndne_f32_e32 v22, v22
	v_cmp_nlt_f32_e32 vcc, s19, v22
	v_cndmask_b32_e32 v23, v14, v22, vcc
	v_cmp_ngt_f32_e32 vcc, s20, v22
	v_cndmask_b32_e32 v22, v15, v23, vcc
	v_div_scale_f32 v23, s[30:31], s25, s25, v9
	v_rcp_f32_e32 v24, v23
	v_cvt_i32_f32_e32 v22, v22
	v_fma_f32 v25, -v23, v24, 1.0
	v_fmac_f32_e32 v24, v25, v24
	v_div_scale_f32 v25, vcc, v9, s25, v9
	v_mul_f32_e32 v26, v25, v24
	v_fma_f32 v27, -v23, v26, v25
	v_fmac_f32_e32 v26, v27, v24
	v_fma_f32 v23, -v23, v26, v25
	v_div_fmas_f32 v23, v23, v24, v26
	v_div_fixup_f32 v9, v23, s25, v9
	v_rndne_f32_e32 v9, v9
	v_cmp_nlt_f32_e32 vcc, s19, v9
	v_cndmask_b32_e32 v23, v14, v9, vcc
	v_cmp_ngt_f32_e32 vcc, s20, v9
	v_cndmask_b32_e32 v9, v15, v23, vcc
	s_waitcnt vmcnt(0)
	v_cvt_f32_f16_e32 v23, v2
	v_cvt_f32_f16_sdwa v2, v2 dst_sel:DWORD dst_unused:UNUSED_PAD src0_sel:WORD_1
	v_cvt_i32_f32_sdwa v9, v9 dst_sel:BYTE_1 dst_unused:UNUSED_PAD src0_sel:DWORD
	v_div_scale_f32 v24, s[30:31], s25, s25, v23
	v_rcp_f32_e32 v25, v24
	v_fma_f32 v26, -v24, v25, 1.0
	v_fmac_f32_e32 v25, v26, v25
	v_div_scale_f32 v26, vcc, v23, s25, v23
	v_mul_f32_e32 v27, v26, v25
	v_fma_f32 v28, -v24, v27, v26
	v_fmac_f32_e32 v27, v28, v25
	v_fma_f32 v24, -v24, v27, v26
	v_div_fmas_f32 v24, v24, v25, v27
	v_div_fixup_f32 v23, v24, s25, v23
	v_rndne_f32_e32 v23, v23
	v_cmp_nlt_f32_e32 vcc, s19, v23
	v_cndmask_b32_e32 v24, v14, v23, vcc
	v_cmp_ngt_f32_e32 vcc, s20, v23
	v_cndmask_b32_e32 v23, v15, v24, vcc
	v_div_scale_f32 v24, s[30:31], s25, s25, v2
	v_rcp_f32_e32 v25, v24
	v_cvt_i32_f32_e32 v23, v23
	v_fma_f32 v26, -v24, v25, 1.0
	v_fmac_f32_e32 v25, v26, v25
	v_div_scale_f32 v26, vcc, v2, s25, v2
	v_mul_f32_e32 v27, v26, v25
	v_fma_f32 v28, -v24, v27, v26
	v_fmac_f32_e32 v27, v28, v25
	v_fma_f32 v24, -v24, v27, v26
	v_div_fmas_f32 v24, v24, v25, v27
	v_div_fixup_f32 v2, v24, s25, v2
	v_rndne_f32_e32 v2, v2
	v_cmp_nlt_f32_e32 vcc, s19, v2
	v_cndmask_b32_e32 v24, v14, v2, vcc
	v_cmp_ngt_f32_e32 vcc, s20, v2
	v_cndmask_b32_e32 v2, v15, v24, vcc
	v_cvt_f32_f16_e32 v24, v3
	v_cvt_f32_f16_sdwa v3, v3 dst_sel:DWORD dst_unused:UNUSED_PAD src0_sel:WORD_1
	v_cvt_i32_f32_sdwa v2, v2 dst_sel:BYTE_1 dst_unused:UNUSED_PAD src0_sel:DWORD
	v_div_scale_f32 v25, s[30:31], s25, s25, v24
	v_rcp_f32_e32 v26, v25
	v_or_b32_sdwa v2, v23, v2 dst_sel:DWORD dst_unused:UNUSED_PAD src0_sel:BYTE_0 src1_sel:DWORD
	v_fma_f32 v27, -v25, v26, 1.0
	v_fmac_f32_e32 v26, v27, v26
	v_div_scale_f32 v27, vcc, v24, s25, v24
	v_mul_f32_e32 v28, v27, v26
	v_fma_f32 v29, -v25, v28, v27
	v_fmac_f32_e32 v28, v29, v26
	v_fma_f32 v25, -v25, v28, v27
	v_div_fmas_f32 v25, v25, v26, v28
	v_div_fixup_f32 v24, v25, s25, v24
	v_rndne_f32_e32 v24, v24
	v_cmp_nlt_f32_e32 vcc, s19, v24
	v_cndmask_b32_e32 v25, v14, v24, vcc
	v_cmp_ngt_f32_e32 vcc, s20, v24
	v_cndmask_b32_e32 v24, v15, v25, vcc
	v_div_scale_f32 v25, s[30:31], s25, s25, v3
	v_rcp_f32_e32 v26, v25
	v_cvt_i32_f32_e32 v24, v24
	v_fma_f32 v27, -v25, v26, 1.0
	v_fmac_f32_e32 v26, v27, v26
	v_div_scale_f32 v27, vcc, v3, s25, v3
	v_mul_f32_e32 v28, v27, v26
	v_fma_f32 v29, -v25, v28, v27
	v_fmac_f32_e32 v28, v29, v26
	v_fma_f32 v25, -v25, v28, v27
	v_div_fmas_f32 v25, v25, v26, v28
	v_div_fixup_f32 v3, v25, s25, v3
	v_rndne_f32_e32 v3, v3
	v_cmp_nlt_f32_e32 vcc, s19, v3
	v_cndmask_b32_e32 v25, v14, v3, vcc
	v_cmp_ngt_f32_e32 vcc, s20, v3
	v_cndmask_b32_e32 v3, v15, v25, vcc
	v_cvt_f32_f16_e32 v25, v4
	v_cvt_f32_f16_sdwa v4, v4 dst_sel:DWORD dst_unused:UNUSED_PAD src0_sel:WORD_1
	v_cvt_i32_f32_sdwa v3, v3 dst_sel:BYTE_1 dst_unused:UNUSED_PAD src0_sel:DWORD
	v_div_scale_f32 v26, s[30:31], s25, s25, v25
	v_rcp_f32_e32 v27, v26
	v_or_b32_sdwa v3, v24, v3 dst_sel:WORD_1 dst_unused:UNUSED_PAD src0_sel:BYTE_0 src1_sel:DWORD
	v_fma_f32 v28, -v26, v27, 1.0
	v_fmac_f32_e32 v27, v28, v27
	v_div_scale_f32 v28, vcc, v25, s25, v25
	v_mul_f32_e32 v29, v28, v27
	v_fma_f32 v30, -v26, v29, v28
	v_fmac_f32_e32 v29, v30, v27
	v_fma_f32 v26, -v26, v29, v28
	v_div_fmas_f32 v26, v26, v27, v29
	v_div_fixup_f32 v25, v26, s25, v25
	v_rndne_f32_e32 v25, v25
	v_cmp_nlt_f32_e32 vcc, s19, v25
	v_cndmask_b32_e32 v26, v14, v25, vcc
	v_cmp_ngt_f32_e32 vcc, s20, v25
	v_cndmask_b32_e32 v25, v15, v26, vcc
	v_div_scale_f32 v26, s[30:31], s25, s25, v4
	v_rcp_f32_e32 v27, v26
	v_cvt_i32_f32_e32 v25, v25
	v_fma_f32 v28, -v26, v27, 1.0
	v_fmac_f32_e32 v27, v28, v27
	v_div_scale_f32 v28, vcc, v4, s25, v4
	v_mul_f32_e32 v29, v28, v27
	v_fma_f32 v30, -v26, v29, v28
	v_fmac_f32_e32 v29, v30, v27
	v_fma_f32 v26, -v26, v29, v28
	v_div_fmas_f32 v26, v26, v27, v29
	v_div_fixup_f32 v4, v26, s25, v4
	v_rndne_f32_e32 v4, v4
	v_cmp_nlt_f32_e32 vcc, s19, v4
	v_cndmask_b32_e32 v26, v14, v4, vcc
	v_cmp_ngt_f32_e32 vcc, s20, v4
	v_cndmask_b32_e32 v4, v15, v26, vcc
	v_cvt_f32_f16_e32 v26, v5
	v_cvt_f32_f16_sdwa v5, v5 dst_sel:DWORD dst_unused:UNUSED_PAD src0_sel:WORD_1
	v_cvt_i32_f32_sdwa v4, v4 dst_sel:BYTE_1 dst_unused:UNUSED_PAD src0_sel:DWORD
	v_div_scale_f32 v27, s[30:31], s25, s25, v26
	v_rcp_f32_e32 v28, v27
	v_or_b32_sdwa v4, v25, v4 dst_sel:DWORD dst_unused:UNUSED_PAD src0_sel:BYTE_0 src1_sel:DWORD
	v_fma_f32 v29, -v27, v28, 1.0
	v_fmac_f32_e32 v28, v29, v28
	v_div_scale_f32 v29, vcc, v26, s25, v26
	v_mul_f32_e32 v30, v29, v28
	v_fma_f32 v31, -v27, v30, v29
	v_fmac_f32_e32 v30, v31, v28
	v_fma_f32 v27, -v27, v30, v29
	v_div_fmas_f32 v27, v27, v28, v30
	v_div_fixup_f32 v26, v27, s25, v26
	v_rndne_f32_e32 v26, v26
	v_cmp_nlt_f32_e32 vcc, s19, v26
	v_cndmask_b32_e32 v27, v14, v26, vcc
	v_cmp_ngt_f32_e32 vcc, s20, v26
	v_cndmask_b32_e32 v26, v15, v27, vcc
	v_div_scale_f32 v27, s[30:31], s25, s25, v5
	v_rcp_f32_e32 v28, v27
	v_cvt_i32_f32_e32 v26, v26
	v_fma_f32 v29, -v27, v28, 1.0
	v_fmac_f32_e32 v28, v29, v28
	v_div_scale_f32 v29, vcc, v5, s25, v5
	v_mul_f32_e32 v30, v29, v28
	v_fma_f32 v31, -v27, v30, v29
	v_fmac_f32_e32 v30, v31, v28
	v_fma_f32 v27, -v27, v30, v29
	v_div_fmas_f32 v27, v27, v28, v30
	v_div_fixup_f32 v5, v27, s25, v5
	v_rndne_f32_e32 v5, v5
	v_cmp_nlt_f32_e32 vcc, s19, v5
	v_cndmask_b32_e32 v27, v14, v5, vcc
	v_cmp_ngt_f32_e32 vcc, s20, v5
	v_cndmask_b32_e32 v5, v15, v27, vcc
	v_cvt_i32_f32_sdwa v5, v5 dst_sel:BYTE_1 dst_unused:UNUSED_PAD src0_sel:DWORD
	v_or_b32_sdwa v5, v26, v5 dst_sel:WORD_1 dst_unused:UNUSED_PAD src0_sel:BYTE_0 src1_sel:DWORD
	v_or_b32_sdwa v5, v4, v5 dst_sel:DWORD dst_unused:UNUSED_PAD src0_sel:WORD_0 src1_sel:DWORD
	v_or_b32_sdwa v4, v2, v3 dst_sel:DWORD dst_unused:UNUSED_PAD src0_sel:WORD_0 src1_sel:DWORD
	v_or_b32_sdwa v2, v21, v8 dst_sel:DWORD dst_unused:UNUSED_PAD src0_sel:BYTE_0 src1_sel:DWORD
	v_or_b32_sdwa v3, v22, v9 dst_sel:WORD_1 dst_unused:UNUSED_PAD src0_sel:BYTE_0 src1_sel:DWORD
	v_or_b32_sdwa v3, v2, v3 dst_sel:DWORD dst_unused:UNUSED_PAD src0_sel:WORD_0 src1_sel:DWORD
	v_or_b32_sdwa v2, v19, v6 dst_sel:DWORD dst_unused:UNUSED_PAD src0_sel:BYTE_0 src1_sel:DWORD
	v_or_b32_sdwa v6, v20, v7 dst_sel:WORD_1 dst_unused:UNUSED_PAD src0_sel:BYTE_0 src1_sel:DWORD
	v_or_b32_sdwa v2, v2, v6 dst_sel:DWORD dst_unused:UNUSED_PAD src0_sel:WORD_0 src1_sel:DWORD
	global_store_dwordx4 v[10:11], v[2:5], off
	v_add_co_u32_e32 v10, vcc, s5, v10
	v_addc_co_u32_e32 v11, vcc, v11, v16, vcc
	v_add_co_u32_e32 v12, vcc, s18, v12
	v_addc_co_u32_e32 v13, vcc, v13, v17, vcc
	v_cmp_le_i32_e32 vcc, s4, v18
	s_or_b64 s[2:3], vcc, s[2:3]
	s_andn2_b64 exec, exec, s[2:3]
	s_cbranch_execnz .LBB2_11
.LBB2_12:
	s_or_b64 exec, exec, s[0:1]
	v_lshl_add_u32 v2, s4, 4, v0
	v_cmp_gt_i32_e32 vcc, s22, v2
	s_and_saveexec_b64 s[18:19], vcc
	s_cbranch_execz .LBB2_20
; %bb.13:
	v_rcp_iflag_f32_e32 v1, v1
	v_add_u32_e32 v3, s24, v2
	v_mov_b32_e32 v5, s24
	v_cmp_gt_i32_e32 vcc, s22, v3
	v_mul_f32_e32 v1, 0x4f7ffffe, v1
	v_cvt_u32_f32_e32 v1, v1
	s_add_u32 s23, s16, s14
	v_max_i32_e32 v4, s22, v3
	v_addc_co_u32_e64 v3, s[0:1], v2, v5, vcc
	s_addc_u32 s29, s17, s15
	s_sub_i32 s0, 0, s24
	v_sub_u32_e32 v3, v4, v3
	v_mul_lo_u32 v4, s0, v1
	v_mul_hi_u32 v4, v1, v4
	v_add_u32_e32 v1, v1, v4
	v_mul_hi_u32 v1, v3, v1
	v_mul_lo_u32 v4, v1, s24
	v_sub_u32_e32 v3, v3, v4
	v_add_u32_e32 v4, 1, v1
	v_cmp_le_u32_e64 s[0:1], s24, v3
	v_cndmask_b32_e64 v1, v1, v4, s[0:1]
	v_subrev_u32_e32 v4, s24, v3
	v_cndmask_b32_e64 v3, v3, v4, s[0:1]
	v_add_u32_e32 v4, 1, v1
	v_cmp_le_u32_e64 s[0:1], s24, v3
	v_cndmask_b32_e64 v1, v1, v4, s[0:1]
	v_addc_co_u32_e32 v1, vcc, 1, v1, vcc
	s_cmp_eq_u32 s24, 1
	v_cmp_lt_u32_e32 vcc, 3, v1
	s_cselect_b64 s[0:1], -1, 0
	s_and_b64 s[2:3], vcc, s[0:1]
	s_mov_b64 s[0:1], -1
	s_and_saveexec_b64 s[16:17], s[2:3]
	s_cbranch_execz .LBB2_17
; %bb.14:
	s_lshl_b64 s[0:1], s[14:15], 1
	s_add_u32 s27, s27, s0
	s_addc_u32 s0, s28, s1
	v_and_b32_e32 v3, -4, v1
	s_waitcnt lgkmcnt(0)
	s_mov_b32 s28, s25
	s_mov_b32 s30, s25
	;; [unrolled: 1-line block ×3, first 2 shown]
	s_mov_b64 s[20:21], 0
	v_mov_b32_e32 v6, s29
	v_mov_b32_e32 v7, s0
	s_mov_b32 s33, 0x42fe0000
	v_mov_b32_e32 v8, 0x42fe0000
	s_mov_b32 s34, 0xc3000000
	v_mov_b32_e32 v9, 0xc3000000
	v_mov_b32_e32 v4, v2
	;; [unrolled: 1-line block ×3, first 2 shown]
.LBB2_15:                               ; =>This Inner Loop Header: Depth=1
	v_ashrrev_i32_e32 v5, 31, v4
	v_lshlrev_b64 v[12:13], 1, v[4:5]
	v_add_co_u32_e32 v12, vcc, s27, v12
	v_addc_co_u32_e32 v13, vcc, v7, v13, vcc
	global_load_dwordx2 v[12:13], v[12:13], off
	v_add_co_u32_e32 v14, vcc, s23, v4
	v_addc_co_u32_e32 v15, vcc, v6, v5, vcc
	v_add_u32_e32 v10, -4, v10
	v_add_u32_e32 v4, 4, v4
	s_waitcnt vmcnt(0)
	v_cvt_f32_f16_e32 v11, v12
	v_cvt_f32_f16_sdwa v12, v12 dst_sel:DWORD dst_unused:UNUSED_PAD src0_sel:WORD_1
	v_cvt_f32_f16_sdwa v5, v13 dst_sel:DWORD dst_unused:UNUSED_PAD src0_sel:WORD_1
	v_cvt_f32_f16_e32 v13, v13
	v_div_scale_f32 v16, s[0:1], s25, s25, v11
	v_div_scale_f32 v18, s[0:1], s28, s28, v12
	v_rcp_f32_e32 v24, v16
	v_div_scale_f32 v20, s[2:3], s30, s30, v13
	v_rcp_f32_e32 v25, v18
	;; [unrolled: 2-line block ×3, first 2 shown]
	v_rcp_f32_e32 v27, v22
	v_fma_f32 v28, -v16, v24, 1.0
	v_div_scale_f32 v17, vcc, v11, s25, v11
	v_fma_f32 v29, -v18, v25, 1.0
	v_fmac_f32_e32 v24, v28, v24
	v_div_scale_f32 v19, s[0:1], v12, s28, v12
	v_fma_f32 v30, -v20, v26, 1.0
	v_fmac_f32_e32 v25, v29, v25
	v_mul_f32_e32 v28, v17, v24
	v_div_scale_f32 v21, s[2:3], v13, s30, v13
	v_fma_f32 v31, -v22, v27, 1.0
	v_fmac_f32_e32 v26, v30, v26
	v_mul_f32_e32 v29, v19, v25
	v_fma_f32 v32, -v16, v28, v17
	v_div_scale_f32 v23, s[4:5], v5, s31, v5
	v_fmac_f32_e32 v27, v31, v27
	v_mul_f32_e32 v30, v21, v26
	v_fma_f32 v33, -v18, v29, v19
	v_fmac_f32_e32 v28, v32, v24
	v_mul_f32_e32 v31, v23, v27
	v_fma_f32 v34, -v20, v30, v21
	v_fmac_f32_e32 v29, v33, v25
	v_fma_f32 v16, -v16, v28, v17
	v_fma_f32 v35, -v22, v31, v23
	v_fmac_f32_e32 v30, v34, v26
	v_fma_f32 v17, -v18, v29, v19
	v_div_fmas_f32 v16, v16, v24, v28
	s_mov_b64 vcc, s[0:1]
	v_fmac_f32_e32 v31, v35, v27
	v_fma_f32 v18, -v20, v30, v21
	v_div_fixup_f32 v11, v16, s25, v11
	v_div_fmas_f32 v16, v17, v25, v29
	s_mov_b64 vcc, s[2:3]
	v_fma_f32 v19, -v22, v31, v23
	v_div_fixup_f32 v12, v16, s28, v12
	v_div_fmas_f32 v16, v18, v26, v30
	v_rndne_f32_e32 v11, v11
	s_mov_b64 vcc, s[4:5]
	v_div_fixup_f32 v13, v16, s30, v13
	v_div_fmas_f32 v16, v19, v27, v31
	v_rndne_f32_e32 v12, v12
	v_cmp_nlt_f32_e32 vcc, s33, v11
	v_cndmask_b32_e32 v17, v8, v11, vcc
	v_cmp_nlt_f32_e32 vcc, s33, v12
	v_div_fixup_f32 v5, v16, s31, v5
	v_rndne_f32_e32 v13, v13
	v_cndmask_b32_e32 v16, v8, v12, vcc
	v_cmp_ngt_f32_e32 vcc, s34, v11
	v_cndmask_b32_e32 v11, v9, v17, vcc
	v_cmp_nlt_f32_e32 vcc, s33, v13
	v_rndne_f32_e32 v5, v5
	v_cndmask_b32_e32 v17, v8, v13, vcc
	v_cmp_ngt_f32_e32 vcc, s34, v12
	v_cndmask_b32_e32 v12, v9, v16, vcc
	v_cmp_nlt_f32_e32 vcc, s33, v5
	v_cndmask_b32_e32 v16, v8, v5, vcc
	v_cmp_ngt_f32_e32 vcc, s34, v13
	v_cndmask_b32_e32 v13, v9, v17, vcc
	v_cmp_ngt_f32_e32 vcc, s34, v5
	v_cndmask_b32_e32 v5, v9, v16, vcc
	v_cvt_i32_f32_e32 v11, v11
	v_cvt_i32_f32_sdwa v12, v12 dst_sel:BYTE_1 dst_unused:UNUSED_PAD src0_sel:DWORD
	v_cvt_i32_f32_e32 v13, v13
	v_cvt_i32_f32_sdwa v5, v5 dst_sel:BYTE_1 dst_unused:UNUSED_PAD src0_sel:DWORD
	v_cmp_eq_u32_e32 vcc, 0, v10
	v_or_b32_sdwa v11, v11, v12 dst_sel:DWORD dst_unused:UNUSED_PAD src0_sel:BYTE_0 src1_sel:DWORD
	s_or_b64 s[20:21], vcc, s[20:21]
	v_or_b32_sdwa v5, v13, v5 dst_sel:WORD_1 dst_unused:UNUSED_PAD src0_sel:BYTE_0 src1_sel:DWORD
	v_or_b32_sdwa v5, v11, v5 dst_sel:DWORD dst_unused:UNUSED_PAD src0_sel:WORD_0 src1_sel:DWORD
	global_store_dword v[14:15], v5, off
	s_andn2_b64 exec, exec, s[20:21]
	s_cbranch_execnz .LBB2_15
; %bb.16:
	s_or_b64 exec, exec, s[20:21]
	v_cmp_ne_u32_e32 vcc, v1, v3
	v_add_u32_e32 v2, v2, v3
	s_orn2_b64 s[0:1], vcc, exec
.LBB2_17:
	s_or_b64 exec, exec, s[16:17]
	s_and_b64 exec, exec, s[0:1]
	s_cbranch_execz .LBB2_20
; %bb.18:
	s_lshl_b64 s[0:1], s[14:15], 1
	s_add_u32 s0, s6, s0
	s_addc_u32 s1, s7, s1
	v_ashrrev_i32_e32 v3, 31, v2
	s_add_u32 s0, s8, s0
	v_lshlrev_b64 v[4:5], 1, v[2:3]
	s_addc_u32 s1, s9, s1
	s_mov_b32 s16, 0
	v_mov_b32_e32 v1, s1
	v_add_co_u32_e32 v4, vcc, s0, v4
	v_addc_co_u32_e32 v5, vcc, v1, v5, vcc
	s_lshl_b32 s4, s24, 1
	s_mov_b64 s[2:3], 0
	v_mov_b32_e32 v1, s29
	s_mov_b32 s5, 0x42fe0000
	v_mov_b32_e32 v6, 0x42fe0000
	s_mov_b32 s14, 0xc3000000
	v_mov_b32_e32 v7, 0xc3000000
	v_mov_b32_e32 v8, s16
	;; [unrolled: 1-line block ×3, first 2 shown]
.LBB2_19:                               ; =>This Inner Loop Header: Depth=1
	global_load_ushort v12, v[4:5], off
	v_add_co_u32_e32 v10, vcc, s23, v2
	v_addc_co_u32_e32 v11, vcc, v1, v3, vcc
	v_add_co_u32_e32 v2, vcc, s24, v2
	v_addc_co_u32_e32 v3, vcc, v3, v8, vcc
	v_add_co_u32_e64 v4, s[0:1], s4, v4
	s_waitcnt vmcnt(0)
	v_cvt_f32_f16_e32 v12, v12
	s_waitcnt lgkmcnt(0)
	v_div_scale_f32 v13, s[16:17], s25, s25, v12
	v_rcp_f32_e32 v15, v13
	v_div_scale_f32 v14, vcc, v12, s25, v12
	v_fma_f32 v16, -v13, v15, 1.0
	v_fmac_f32_e32 v15, v16, v15
	v_mul_f32_e32 v16, v14, v15
	v_fma_f32 v17, -v13, v16, v14
	v_fmac_f32_e32 v16, v17, v15
	v_fma_f32 v13, -v13, v16, v14
	v_div_fmas_f32 v13, v13, v15, v16
	v_div_fixup_f32 v12, v13, s25, v12
	v_rndne_f32_e32 v12, v12
	v_cmp_nlt_f32_e32 vcc, s5, v12
	v_cndmask_b32_e32 v13, v6, v12, vcc
	v_cmp_ngt_f32_e32 vcc, s14, v12
	v_cndmask_b32_e32 v12, v7, v13, vcc
	v_cvt_i32_f32_e32 v12, v12
	v_addc_co_u32_e64 v5, vcc, v5, v9, s[0:1]
	v_cmp_le_i32_e32 vcc, s22, v2
	s_or_b64 s[2:3], vcc, s[2:3]
	global_store_byte v[10:11], v12, off
	s_andn2_b64 exec, exec, s[2:3]
	s_cbranch_execnz .LBB2_19
.LBB2_20:
	s_or_b64 exec, exec, s[18:19]
	s_mov_b64 s[0:1], 0
.LBB2_21:
	s_and_b64 vcc, exec, s[0:1]
	s_cbranch_vccz .LBB2_25
; %bb.22:
	s_ashr_i32 s2, s26, 4
	v_cmp_gt_i32_e32 vcc, s2, v0
	s_and_saveexec_b64 s[0:1], vcc
	s_cbranch_execz .LBB2_25
; %bb.23:
	s_add_u32 s0, s10, s12
	v_lshlrev_b32_e32 v1, 4, v0
	s_addc_u32 s1, s11, s13
	s_lshl_b32 s3, s24, 4
	v_mov_b32_e32 v2, s1
	v_add_co_u32_e32 v10, vcc, s0, v1
	s_add_u32 s0, s8, s6
	v_addc_co_u32_e32 v11, vcc, 0, v2, vcc
	v_lshlrev_b32_e32 v1, 5, v0
	s_addc_u32 s1, s9, s7
	s_mov_b32 s14, 0
	v_mov_b32_e32 v2, s1
	v_add_co_u32_e32 v12, vcc, s0, v1
	v_addc_co_u32_e32 v13, vcc, 0, v2, vcc
	s_lshl_b32 s4, s24, 5
	s_mov_b64 s[0:1], 0
	s_mov_b32 s5, 0x42fe0000
	v_mov_b32_e32 v1, 0x42fe0000
	s_mov_b32 s6, 0xc3000000
	v_mov_b32_e32 v14, 0xc3000000
	v_mov_b32_e32 v15, s14
	;; [unrolled: 1-line block ×3, first 2 shown]
.LBB2_24:                               ; =>This Inner Loop Header: Depth=1
	global_load_dwordx4 v[6:9], v[12:13], off
	global_load_dwordx4 v[2:5], v[12:13], off offset:16
	v_add_u32_e32 v0, s24, v0
	s_waitcnt vmcnt(1)
	v_cvt_f32_f16_e32 v17, v6
	v_cvt_f32_f16_sdwa v6, v6 dst_sel:DWORD dst_unused:UNUSED_PAD src0_sel:WORD_1
	s_waitcnt lgkmcnt(0)
	v_div_scale_f32 v18, s[8:9], s25, s25, v17
	v_rcp_f32_e32 v19, v18
	v_fma_f32 v20, -v18, v19, 1.0
	v_fmac_f32_e32 v19, v20, v19
	v_div_scale_f32 v20, vcc, v17, s25, v17
	v_mul_f32_e32 v21, v20, v19
	v_fma_f32 v22, -v18, v21, v20
	v_fmac_f32_e32 v21, v22, v19
	v_fma_f32 v18, -v18, v21, v20
	v_div_fmas_f32 v18, v18, v19, v21
	v_div_fixup_f32 v17, v18, s25, v17
	v_rndne_f32_e32 v17, v17
	v_cmp_nlt_f32_e32 vcc, s5, v17
	v_cndmask_b32_e32 v18, v1, v17, vcc
	v_cmp_ngt_f32_e32 vcc, s6, v17
	v_cndmask_b32_e32 v17, v14, v18, vcc
	v_div_scale_f32 v18, s[8:9], s25, s25, v6
	v_rcp_f32_e32 v19, v18
	v_cvt_i32_f32_e32 v17, v17
	v_fma_f32 v20, -v18, v19, 1.0
	v_fmac_f32_e32 v19, v20, v19
	v_div_scale_f32 v20, vcc, v6, s25, v6
	v_mul_f32_e32 v21, v20, v19
	v_fma_f32 v22, -v18, v21, v20
	v_fmac_f32_e32 v21, v22, v19
	v_fma_f32 v18, -v18, v21, v20
	v_div_fmas_f32 v18, v18, v19, v21
	v_div_fixup_f32 v6, v18, s25, v6
	v_rndne_f32_e32 v6, v6
	v_cmp_nlt_f32_e32 vcc, s5, v6
	v_cndmask_b32_e32 v18, v1, v6, vcc
	v_cmp_ngt_f32_e32 vcc, s6, v6
	v_cndmask_b32_e32 v6, v14, v18, vcc
	v_cvt_f32_f16_e32 v18, v7
	v_cvt_f32_f16_sdwa v7, v7 dst_sel:DWORD dst_unused:UNUSED_PAD src0_sel:WORD_1
	v_cvt_i32_f32_sdwa v6, v6 dst_sel:BYTE_1 dst_unused:UNUSED_PAD src0_sel:DWORD
	v_div_scale_f32 v19, s[8:9], s25, s25, v18
	v_rcp_f32_e32 v20, v19
	v_fma_f32 v21, -v19, v20, 1.0
	v_fmac_f32_e32 v20, v21, v20
	v_div_scale_f32 v21, vcc, v18, s25, v18
	v_mul_f32_e32 v22, v21, v20
	v_fma_f32 v23, -v19, v22, v21
	v_fmac_f32_e32 v22, v23, v20
	v_fma_f32 v19, -v19, v22, v21
	v_div_fmas_f32 v19, v19, v20, v22
	v_div_fixup_f32 v18, v19, s25, v18
	v_rndne_f32_e32 v18, v18
	v_cmp_nlt_f32_e32 vcc, s5, v18
	v_cndmask_b32_e32 v19, v1, v18, vcc
	v_cmp_ngt_f32_e32 vcc, s6, v18
	v_cndmask_b32_e32 v18, v14, v19, vcc
	v_div_scale_f32 v19, s[8:9], s25, s25, v7
	v_rcp_f32_e32 v20, v19
	v_cvt_i32_f32_e32 v18, v18
	v_fma_f32 v21, -v19, v20, 1.0
	v_fmac_f32_e32 v20, v21, v20
	v_div_scale_f32 v21, vcc, v7, s25, v7
	v_mul_f32_e32 v22, v21, v20
	v_fma_f32 v23, -v19, v22, v21
	v_fmac_f32_e32 v22, v23, v20
	v_fma_f32 v19, -v19, v22, v21
	v_div_fmas_f32 v19, v19, v20, v22
	v_div_fixup_f32 v7, v19, s25, v7
	v_rndne_f32_e32 v7, v7
	v_cmp_nlt_f32_e32 vcc, s5, v7
	v_cndmask_b32_e32 v19, v1, v7, vcc
	v_cmp_ngt_f32_e32 vcc, s6, v7
	v_cndmask_b32_e32 v7, v14, v19, vcc
	v_cvt_f32_f16_e32 v19, v8
	v_cvt_f32_f16_sdwa v8, v8 dst_sel:DWORD dst_unused:UNUSED_PAD src0_sel:WORD_1
	v_cvt_i32_f32_sdwa v7, v7 dst_sel:BYTE_1 dst_unused:UNUSED_PAD src0_sel:DWORD
	;; [unrolled: 36-line block ×3, first 2 shown]
	v_div_scale_f32 v21, s[8:9], s25, s25, v20
	v_rcp_f32_e32 v22, v21
	v_fma_f32 v23, -v21, v22, 1.0
	v_fmac_f32_e32 v22, v23, v22
	v_div_scale_f32 v23, vcc, v20, s25, v20
	v_mul_f32_e32 v24, v23, v22
	v_fma_f32 v25, -v21, v24, v23
	v_fmac_f32_e32 v24, v25, v22
	v_fma_f32 v21, -v21, v24, v23
	v_div_fmas_f32 v21, v21, v22, v24
	v_div_fixup_f32 v20, v21, s25, v20
	v_rndne_f32_e32 v20, v20
	v_cmp_nlt_f32_e32 vcc, s5, v20
	v_cndmask_b32_e32 v21, v1, v20, vcc
	v_cmp_ngt_f32_e32 vcc, s6, v20
	v_cndmask_b32_e32 v20, v14, v21, vcc
	v_div_scale_f32 v21, s[8:9], s25, s25, v9
	v_rcp_f32_e32 v22, v21
	v_cvt_i32_f32_e32 v20, v20
	v_fma_f32 v23, -v21, v22, 1.0
	v_fmac_f32_e32 v22, v23, v22
	v_div_scale_f32 v23, vcc, v9, s25, v9
	v_mul_f32_e32 v24, v23, v22
	v_fma_f32 v25, -v21, v24, v23
	v_fmac_f32_e32 v24, v25, v22
	v_fma_f32 v21, -v21, v24, v23
	v_div_fmas_f32 v21, v21, v22, v24
	v_div_fixup_f32 v9, v21, s25, v9
	v_rndne_f32_e32 v9, v9
	v_cmp_nlt_f32_e32 vcc, s5, v9
	v_cndmask_b32_e32 v21, v1, v9, vcc
	v_cmp_ngt_f32_e32 vcc, s6, v9
	v_cndmask_b32_e32 v9, v14, v21, vcc
	s_waitcnt vmcnt(0)
	v_cvt_f32_f16_e32 v21, v2
	v_cvt_f32_f16_sdwa v2, v2 dst_sel:DWORD dst_unused:UNUSED_PAD src0_sel:WORD_1
	v_cvt_i32_f32_sdwa v9, v9 dst_sel:BYTE_1 dst_unused:UNUSED_PAD src0_sel:DWORD
	v_div_scale_f32 v22, s[8:9], s25, s25, v21
	v_rcp_f32_e32 v23, v22
	v_fma_f32 v24, -v22, v23, 1.0
	v_fmac_f32_e32 v23, v24, v23
	v_div_scale_f32 v24, vcc, v21, s25, v21
	v_mul_f32_e32 v25, v24, v23
	v_fma_f32 v26, -v22, v25, v24
	v_fmac_f32_e32 v25, v26, v23
	v_fma_f32 v22, -v22, v25, v24
	v_div_fmas_f32 v22, v22, v23, v25
	v_div_fixup_f32 v21, v22, s25, v21
	v_rndne_f32_e32 v21, v21
	v_cmp_nlt_f32_e32 vcc, s5, v21
	v_cndmask_b32_e32 v22, v1, v21, vcc
	v_cmp_ngt_f32_e32 vcc, s6, v21
	v_cndmask_b32_e32 v21, v14, v22, vcc
	v_div_scale_f32 v22, s[8:9], s25, s25, v2
	v_rcp_f32_e32 v23, v22
	v_cvt_i32_f32_e32 v21, v21
	v_fma_f32 v24, -v22, v23, 1.0
	v_fmac_f32_e32 v23, v24, v23
	v_div_scale_f32 v24, vcc, v2, s25, v2
	v_mul_f32_e32 v25, v24, v23
	v_fma_f32 v26, -v22, v25, v24
	v_fmac_f32_e32 v25, v26, v23
	v_fma_f32 v22, -v22, v25, v24
	v_div_fmas_f32 v22, v22, v23, v25
	v_div_fixup_f32 v2, v22, s25, v2
	v_rndne_f32_e32 v2, v2
	v_cmp_nlt_f32_e32 vcc, s5, v2
	v_cndmask_b32_e32 v22, v1, v2, vcc
	v_cmp_ngt_f32_e32 vcc, s6, v2
	v_cndmask_b32_e32 v2, v14, v22, vcc
	v_cvt_f32_f16_e32 v22, v3
	v_cvt_f32_f16_sdwa v3, v3 dst_sel:DWORD dst_unused:UNUSED_PAD src0_sel:WORD_1
	v_cvt_i32_f32_sdwa v2, v2 dst_sel:BYTE_1 dst_unused:UNUSED_PAD src0_sel:DWORD
	v_div_scale_f32 v23, s[8:9], s25, s25, v22
	v_rcp_f32_e32 v24, v23
	v_or_b32_sdwa v2, v21, v2 dst_sel:DWORD dst_unused:UNUSED_PAD src0_sel:BYTE_0 src1_sel:DWORD
	v_fma_f32 v25, -v23, v24, 1.0
	v_fmac_f32_e32 v24, v25, v24
	v_div_scale_f32 v25, vcc, v22, s25, v22
	v_mul_f32_e32 v26, v25, v24
	v_fma_f32 v27, -v23, v26, v25
	v_fmac_f32_e32 v26, v27, v24
	v_fma_f32 v23, -v23, v26, v25
	v_div_fmas_f32 v23, v23, v24, v26
	v_div_fixup_f32 v22, v23, s25, v22
	v_rndne_f32_e32 v22, v22
	v_cmp_nlt_f32_e32 vcc, s5, v22
	v_cndmask_b32_e32 v23, v1, v22, vcc
	v_cmp_ngt_f32_e32 vcc, s6, v22
	v_cndmask_b32_e32 v22, v14, v23, vcc
	v_div_scale_f32 v23, s[8:9], s25, s25, v3
	v_rcp_f32_e32 v24, v23
	v_cvt_i32_f32_e32 v22, v22
	v_fma_f32 v25, -v23, v24, 1.0
	v_fmac_f32_e32 v24, v25, v24
	v_div_scale_f32 v25, vcc, v3, s25, v3
	v_mul_f32_e32 v26, v25, v24
	v_fma_f32 v27, -v23, v26, v25
	v_fmac_f32_e32 v26, v27, v24
	v_fma_f32 v23, -v23, v26, v25
	v_div_fmas_f32 v23, v23, v24, v26
	v_div_fixup_f32 v3, v23, s25, v3
	v_rndne_f32_e32 v3, v3
	v_cmp_nlt_f32_e32 vcc, s5, v3
	v_cndmask_b32_e32 v23, v1, v3, vcc
	v_cmp_ngt_f32_e32 vcc, s6, v3
	v_cndmask_b32_e32 v3, v14, v23, vcc
	v_cvt_f32_f16_e32 v23, v4
	v_cvt_f32_f16_sdwa v4, v4 dst_sel:DWORD dst_unused:UNUSED_PAD src0_sel:WORD_1
	v_cvt_i32_f32_sdwa v3, v3 dst_sel:BYTE_1 dst_unused:UNUSED_PAD src0_sel:DWORD
	v_div_scale_f32 v24, s[8:9], s25, s25, v23
	v_rcp_f32_e32 v25, v24
	v_or_b32_sdwa v3, v22, v3 dst_sel:WORD_1 dst_unused:UNUSED_PAD src0_sel:BYTE_0 src1_sel:DWORD
	v_fma_f32 v26, -v24, v25, 1.0
	v_fmac_f32_e32 v25, v26, v25
	v_div_scale_f32 v26, vcc, v23, s25, v23
	v_mul_f32_e32 v27, v26, v25
	v_fma_f32 v28, -v24, v27, v26
	v_fmac_f32_e32 v27, v28, v25
	v_fma_f32 v24, -v24, v27, v26
	v_div_fmas_f32 v24, v24, v25, v27
	v_div_fixup_f32 v23, v24, s25, v23
	v_rndne_f32_e32 v23, v23
	v_cmp_nlt_f32_e32 vcc, s5, v23
	v_cndmask_b32_e32 v24, v1, v23, vcc
	v_cmp_ngt_f32_e32 vcc, s6, v23
	v_cndmask_b32_e32 v23, v14, v24, vcc
	v_div_scale_f32 v24, s[8:9], s25, s25, v4
	v_rcp_f32_e32 v25, v24
	v_cvt_i32_f32_e32 v23, v23
	v_fma_f32 v26, -v24, v25, 1.0
	v_fmac_f32_e32 v25, v26, v25
	v_div_scale_f32 v26, vcc, v4, s25, v4
	v_mul_f32_e32 v27, v26, v25
	v_fma_f32 v28, -v24, v27, v26
	v_fmac_f32_e32 v27, v28, v25
	v_fma_f32 v24, -v24, v27, v26
	v_div_fmas_f32 v24, v24, v25, v27
	v_div_fixup_f32 v4, v24, s25, v4
	v_rndne_f32_e32 v4, v4
	v_cmp_nlt_f32_e32 vcc, s5, v4
	v_cndmask_b32_e32 v24, v1, v4, vcc
	v_cmp_ngt_f32_e32 vcc, s6, v4
	v_cndmask_b32_e32 v4, v14, v24, vcc
	v_cvt_f32_f16_e32 v24, v5
	v_cvt_f32_f16_sdwa v5, v5 dst_sel:DWORD dst_unused:UNUSED_PAD src0_sel:WORD_1
	v_cvt_i32_f32_sdwa v4, v4 dst_sel:BYTE_1 dst_unused:UNUSED_PAD src0_sel:DWORD
	v_div_scale_f32 v25, s[8:9], s25, s25, v24
	v_rcp_f32_e32 v26, v25
	v_or_b32_sdwa v4, v23, v4 dst_sel:DWORD dst_unused:UNUSED_PAD src0_sel:BYTE_0 src1_sel:DWORD
	v_fma_f32 v27, -v25, v26, 1.0
	v_fmac_f32_e32 v26, v27, v26
	v_div_scale_f32 v27, vcc, v24, s25, v24
	v_mul_f32_e32 v28, v27, v26
	v_fma_f32 v29, -v25, v28, v27
	v_fmac_f32_e32 v28, v29, v26
	v_fma_f32 v25, -v25, v28, v27
	v_div_fmas_f32 v25, v25, v26, v28
	v_div_fixup_f32 v24, v25, s25, v24
	v_rndne_f32_e32 v24, v24
	v_cmp_nlt_f32_e32 vcc, s5, v24
	v_cndmask_b32_e32 v25, v1, v24, vcc
	v_cmp_ngt_f32_e32 vcc, s6, v24
	v_cndmask_b32_e32 v24, v14, v25, vcc
	v_div_scale_f32 v25, s[8:9], s25, s25, v5
	v_rcp_f32_e32 v26, v25
	v_cvt_i32_f32_e32 v24, v24
	v_fma_f32 v27, -v25, v26, 1.0
	v_fmac_f32_e32 v26, v27, v26
	v_div_scale_f32 v27, vcc, v5, s25, v5
	v_mul_f32_e32 v28, v27, v26
	v_fma_f32 v29, -v25, v28, v27
	v_fmac_f32_e32 v28, v29, v26
	v_fma_f32 v25, -v25, v28, v27
	v_div_fmas_f32 v25, v25, v26, v28
	v_div_fixup_f32 v5, v25, s25, v5
	v_rndne_f32_e32 v5, v5
	v_cmp_nlt_f32_e32 vcc, s5, v5
	v_cndmask_b32_e32 v25, v1, v5, vcc
	v_cmp_ngt_f32_e32 vcc, s6, v5
	v_cndmask_b32_e32 v5, v14, v25, vcc
	v_cvt_i32_f32_sdwa v5, v5 dst_sel:BYTE_1 dst_unused:UNUSED_PAD src0_sel:DWORD
	v_or_b32_sdwa v5, v24, v5 dst_sel:WORD_1 dst_unused:UNUSED_PAD src0_sel:BYTE_0 src1_sel:DWORD
	v_or_b32_sdwa v5, v4, v5 dst_sel:DWORD dst_unused:UNUSED_PAD src0_sel:WORD_0 src1_sel:DWORD
	v_or_b32_sdwa v4, v2, v3 dst_sel:DWORD dst_unused:UNUSED_PAD src0_sel:WORD_0 src1_sel:DWORD
	v_or_b32_sdwa v2, v19, v8 dst_sel:DWORD dst_unused:UNUSED_PAD src0_sel:BYTE_0 src1_sel:DWORD
	v_or_b32_sdwa v3, v20, v9 dst_sel:WORD_1 dst_unused:UNUSED_PAD src0_sel:BYTE_0 src1_sel:DWORD
	v_or_b32_sdwa v3, v2, v3 dst_sel:DWORD dst_unused:UNUSED_PAD src0_sel:WORD_0 src1_sel:DWORD
	v_or_b32_sdwa v2, v17, v6 dst_sel:DWORD dst_unused:UNUSED_PAD src0_sel:BYTE_0 src1_sel:DWORD
	v_or_b32_sdwa v6, v18, v7 dst_sel:WORD_1 dst_unused:UNUSED_PAD src0_sel:BYTE_0 src1_sel:DWORD
	v_or_b32_sdwa v2, v2, v6 dst_sel:DWORD dst_unused:UNUSED_PAD src0_sel:WORD_0 src1_sel:DWORD
	global_store_dwordx4 v[10:11], v[2:5], off
	v_add_co_u32_e32 v10, vcc, s3, v10
	v_addc_co_u32_e32 v11, vcc, v11, v15, vcc
	v_add_co_u32_e32 v12, vcc, s4, v12
	v_addc_co_u32_e32 v13, vcc, v13, v16, vcc
	v_cmp_le_i32_e32 vcc, s2, v0
	s_or_b64 s[0:1], vcc, s[0:1]
	s_andn2_b64 exec, exec, s[0:1]
	s_cbranch_execnz .LBB2_24
.LBB2_25:
	s_endpgm
	.section	.rodata,"a",@progbits
	.p2align	6, 0x0
	.amdhsa_kernel _ZN4vllm31static_scaled_int8_quant_kernelIN3c104HalfEfEEvPKT_PaPKT0_i
		.amdhsa_group_segment_fixed_size 0
		.amdhsa_private_segment_fixed_size 0
		.amdhsa_kernarg_size 288
		.amdhsa_user_sgpr_count 6
		.amdhsa_user_sgpr_private_segment_buffer 1
		.amdhsa_user_sgpr_dispatch_ptr 0
		.amdhsa_user_sgpr_queue_ptr 0
		.amdhsa_user_sgpr_kernarg_segment_ptr 1
		.amdhsa_user_sgpr_dispatch_id 0
		.amdhsa_user_sgpr_flat_scratch_init 0
		.amdhsa_user_sgpr_kernarg_preload_length 0
		.amdhsa_user_sgpr_kernarg_preload_offset 0
		.amdhsa_user_sgpr_private_segment_size 0
		.amdhsa_uses_dynamic_stack 0
		.amdhsa_system_sgpr_private_segment_wavefront_offset 0
		.amdhsa_system_sgpr_workgroup_id_x 1
		.amdhsa_system_sgpr_workgroup_id_y 0
		.amdhsa_system_sgpr_workgroup_id_z 0
		.amdhsa_system_sgpr_workgroup_info 0
		.amdhsa_system_vgpr_workitem_id 0
		.amdhsa_next_free_vgpr 36
		.amdhsa_next_free_sgpr 35
		.amdhsa_accum_offset 36
		.amdhsa_reserve_vcc 1
		.amdhsa_reserve_flat_scratch 0
		.amdhsa_float_round_mode_32 0
		.amdhsa_float_round_mode_16_64 0
		.amdhsa_float_denorm_mode_32 3
		.amdhsa_float_denorm_mode_16_64 3
		.amdhsa_dx10_clamp 1
		.amdhsa_ieee_mode 1
		.amdhsa_fp16_overflow 0
		.amdhsa_tg_split 0
		.amdhsa_exception_fp_ieee_invalid_op 0
		.amdhsa_exception_fp_denorm_src 0
		.amdhsa_exception_fp_ieee_div_zero 0
		.amdhsa_exception_fp_ieee_overflow 0
		.amdhsa_exception_fp_ieee_underflow 0
		.amdhsa_exception_fp_ieee_inexact 0
		.amdhsa_exception_int_div_zero 0
	.end_amdhsa_kernel
	.section	.text._ZN4vllm31static_scaled_int8_quant_kernelIN3c104HalfEfEEvPKT_PaPKT0_i,"axG",@progbits,_ZN4vllm31static_scaled_int8_quant_kernelIN3c104HalfEfEEvPKT_PaPKT0_i,comdat
.Lfunc_end2:
	.size	_ZN4vllm31static_scaled_int8_quant_kernelIN3c104HalfEfEEvPKT_PaPKT0_i, .Lfunc_end2-_ZN4vllm31static_scaled_int8_quant_kernelIN3c104HalfEfEEvPKT_PaPKT0_i
                                        ; -- End function
	.section	.AMDGPU.csdata,"",@progbits
; Kernel info:
; codeLenInByte = 6300
; NumSgprs: 39
; NumVgprs: 36
; NumAgprs: 0
; TotalNumVgprs: 36
; ScratchSize: 0
; MemoryBound: 0
; FloatMode: 240
; IeeeMode: 1
; LDSByteSize: 0 bytes/workgroup (compile time only)
; SGPRBlocks: 4
; VGPRBlocks: 4
; NumSGPRsForWavesPerEU: 39
; NumVGPRsForWavesPerEU: 36
; AccumOffset: 36
; Occupancy: 8
; WaveLimiterHint : 0
; COMPUTE_PGM_RSRC2:SCRATCH_EN: 0
; COMPUTE_PGM_RSRC2:USER_SGPR: 6
; COMPUTE_PGM_RSRC2:TRAP_HANDLER: 0
; COMPUTE_PGM_RSRC2:TGID_X_EN: 1
; COMPUTE_PGM_RSRC2:TGID_Y_EN: 0
; COMPUTE_PGM_RSRC2:TGID_Z_EN: 0
; COMPUTE_PGM_RSRC2:TIDIG_COMP_CNT: 0
; COMPUTE_PGM_RSRC3_GFX90A:ACCUM_OFFSET: 8
; COMPUTE_PGM_RSRC3_GFX90A:TG_SPLIT: 0
	.section	.text._ZN4vllm35static_scaled_int8_azp_quant_kernelIN3c104HalfEfiEEvPKT_PaPKT0_PKT1_i,"axG",@progbits,_ZN4vllm35static_scaled_int8_azp_quant_kernelIN3c104HalfEfiEEvPKT_PaPKT0_PKT1_i,comdat
	.protected	_ZN4vllm35static_scaled_int8_azp_quant_kernelIN3c104HalfEfiEEvPKT_PaPKT0_PKT1_i ; -- Begin function _ZN4vllm35static_scaled_int8_azp_quant_kernelIN3c104HalfEfiEEvPKT_PaPKT0_PKT1_i
	.globl	_ZN4vllm35static_scaled_int8_azp_quant_kernelIN3c104HalfEfiEEvPKT_PaPKT0_PKT1_i
	.p2align	8
	.type	_ZN4vllm35static_scaled_int8_azp_quant_kernelIN3c104HalfEfiEEvPKT_PaPKT0_PKT1_i,@function
_ZN4vllm35static_scaled_int8_azp_quant_kernelIN3c104HalfEfiEEvPKT_PaPKT0_PKT1_i: ; @_ZN4vllm35static_scaled_int8_azp_quant_kernelIN3c104HalfEfiEEvPKT_PaPKT0_PKT1_i
; %bb.0:
	s_load_dwordx8 s[8:15], s[4:5], 0x0
	s_load_dword s33, s[4:5], 0x20
	s_load_dword s0, s[4:5], 0x34
	s_waitcnt lgkmcnt(0)
	s_ashr_i32 s3, s33, 31
	s_load_dword s2, s[12:13], 0x0
	s_and_b32 s28, s0, 0xffff
	s_mul_i32 s3, s3, s6
	s_load_dword s29, s[14:15], 0x0
	s_mul_i32 s14, s33, s6
	s_waitcnt lgkmcnt(0)
	v_div_scale_f32 v1, s[0:1], s2, s2, 1.0
	v_rcp_f32_e32 v2, v1
	s_mul_hi_u32 s0, s33, s6
	s_add_i32 s15, s0, s3
	v_div_scale_f32 v3, vcc, 1.0, s2, 1.0
	v_fma_f32 v4, -v1, v2, 1.0
	v_fmac_f32_e32 v2, v4, v2
	s_lshl_b64 s[12:13], s[14:15], 1
	v_mul_f32_e32 v4, v3, v2
	s_add_u32 s30, s8, s12
	v_fma_f32 v5, -v1, v4, v3
	s_addc_u32 s31, s9, s13
	v_fmac_f32_e32 v4, v5, v2
	s_add_u32 s16, s10, s14
	v_fma_f32 v1, -v1, v4, v3
	s_addc_u32 s17, s11, s15
	s_and_b32 s0, s30, 31
	s_mov_b32 s1, 0
	v_div_fmas_f32 v1, v1, v2, v4
	s_cmp_lg_u64 s[0:1], 0
	v_div_fixup_f32 v38, v1, s2, 1.0
	s_cselect_b64 s[0:1], -1, 0
	s_and_b32 s2, s33, 15
	s_cmp_lg_u32 s2, 0
	s_cselect_b64 s[2:3], -1, 0
	s_or_b64 s[2:3], s[2:3], s[0:1]
	s_mov_b64 s[0:1], -1
	s_and_b64 vcc, exec, s[2:3]
	s_cbranch_vccz .LBB3_98
; %bb.1:
	s_sub_i32 s0, 0, s30
	s_bfe_u32 s0, s0, 0x40001
	s_min_i32 s18, s0, s33
	v_cmp_gt_i32_e32 vcc, s18, v0
	s_and_saveexec_b64 s[2:3], vcc
	s_cbranch_execz .LBB3_13
; %bb.2:
	v_cvt_f32_u32_e32 v1, s28
	v_add_u32_e32 v2, s28, v0
	v_mov_b32_e32 v3, s28
	s_sub_i32 s4, 0, s28
	v_rcp_iflag_f32_e32 v1, v1
	v_cmp_gt_i32_e32 vcc, s18, v2
	v_max_i32_e32 v4, s18, v2
	v_addc_co_u32_e64 v2, s[0:1], v0, v3, vcc
	v_mul_f32_e32 v1, 0x4f7ffffe, v1
	v_cvt_u32_f32_e32 v1, v1
	v_sub_u32_e32 v2, v4, v2
	s_cmp_eq_u32 s28, 1
	v_mul_lo_u32 v3, s4, v1
	v_mul_hi_u32 v3, v1, v3
	v_add_u32_e32 v1, v1, v3
	v_mul_hi_u32 v1, v2, v1
	v_mul_lo_u32 v3, v1, s28
	v_sub_u32_e32 v2, v2, v3
	v_add_u32_e32 v4, 1, v1
	v_cmp_le_u32_e64 s[0:1], s28, v2
	v_subrev_u32_e32 v3, s28, v2
	v_cndmask_b32_e64 v1, v1, v4, s[0:1]
	v_cndmask_b32_e64 v2, v2, v3, s[0:1]
	v_add_u32_e32 v3, 1, v1
	v_cmp_le_u32_e64 s[0:1], s28, v2
	v_cndmask_b32_e64 v1, v1, v3, s[0:1]
	v_addc_co_u32_e32 v1, vcc, 1, v1, vcc
	v_cmp_lt_u32_e32 vcc, 3, v1
	s_cselect_b64 s[0:1], -1, 0
	s_and_b64 s[6:7], vcc, s[0:1]
	s_mov_b64 s[4:5], -1
	v_mov_b32_e32 v2, v0
	s_and_saveexec_b64 s[0:1], s[6:7]
	s_cbranch_execz .LBB3_6
; %bb.3:
	v_and_b32_e32 v6, -4, v1
	v_mov_b32_e32 v39, v38
	s_mov_b32 s6, s29
	s_mov_b32 s7, s29
	;; [unrolled: 1-line block ×3, first 2 shown]
	s_mov_b64 s[4:5], 0
	v_mov_b32_e32 v3, 0
	v_mov_b32_e32 v7, s31
	;; [unrolled: 1-line block ×4, first 2 shown]
	s_mov_b32 s20, 0x4f000000
	s_mov_b32 s21, 0xcf000000
	v_mov_b32_e32 v8, 0xcf000000
	v_bfrev_b32_e32 v9, -2
	s_movk_i32 s22, 0xff80
	v_mov_b32_e32 v10, 0x7f
	v_mov_b32_e32 v2, v0
	;; [unrolled: 1-line block ×3, first 2 shown]
.LBB3_4:                                ; =>This Inner Loop Header: Depth=1
	v_lshlrev_b64 v[12:13], 1, v[2:3]
	v_add_co_u32_e32 v12, vcc, s30, v12
	v_addc_co_u32_e32 v13, vcc, v7, v13, vcc
	global_load_dwordx2 v[12:13], v[12:13], off
	v_add_u32_e32 v11, -4, v11
	v_cmp_eq_u32_e32 vcc, 0, v11
	s_or_b64 s[4:5], vcc, s[4:5]
	s_waitcnt vmcnt(0)
	v_cvt_f32_f16_e32 v14, v13
	v_cvt_f32_f16_sdwa v15, v13 dst_sel:DWORD dst_unused:UNUSED_PAD src0_sel:WORD_1
	v_cvt_f32_f16_e32 v16, v12
	v_cvt_f32_f16_sdwa v17, v12 dst_sel:DWORD dst_unused:UNUSED_PAD src0_sel:WORD_1
	v_pk_mul_f32 v[14:15], v[4:5], v[14:15]
	v_rndne_f32_e32 v14, v14
	v_pk_mul_f32 v[12:13], v[38:39], v[16:17]
	v_rndne_f32_e32 v15, v15
	v_cmp_nge_f32_e32 vcc, s21, v14
	v_rndne_f32_e32 v12, v12
	v_cndmask_b32_e32 v16, v8, v14, vcc
	v_cmp_nge_f32_e32 vcc, s21, v15
	v_rndne_f32_e32 v13, v13
	v_cndmask_b32_e32 v17, v8, v15, vcc
	v_cmp_nge_f32_e32 vcc, s21, v12
	v_cvt_i32_f32_e32 v16, v16
	v_cndmask_b32_e32 v18, v8, v12, vcc
	v_cmp_nge_f32_e32 vcc, s21, v13
	v_cvt_i32_f32_e32 v17, v17
	v_cndmask_b32_e32 v19, v8, v13, vcc
	v_cvt_i32_f32_e32 v18, v18
	v_cvt_i32_f32_e32 v19, v19
	v_cmp_nle_f32_e32 vcc, s20, v14
	v_cndmask_b32_e32 v14, v9, v16, vcc
	v_cmp_nle_f32_e32 vcc, s20, v15
	v_cndmask_b32_e32 v15, v9, v17, vcc
	;; [unrolled: 2-line block ×4, first 2 shown]
	v_add_u32_e32 v13, s6, v13
	v_add_u32_e32 v15, s19, v15
	v_add_u32_e32 v12, s29, v12
	v_add_u32_e32 v14, s7, v14
	v_med3_i32 v15, v15, s22, v10
	v_med3_i32 v13, v13, s22, v10
	;; [unrolled: 1-line block ×4, first 2 shown]
	v_lshlrev_b16_e32 v13, 8, v13
	v_lshlrev_b16_e32 v15, 8, v15
	v_or_b32_sdwa v12, v12, v13 dst_sel:DWORD dst_unused:UNUSED_PAD src0_sel:BYTE_0 src1_sel:DWORD
	v_or_b32_sdwa v13, v14, v15 dst_sel:WORD_1 dst_unused:UNUSED_PAD src0_sel:BYTE_0 src1_sel:DWORD
	v_or_b32_sdwa v12, v12, v13 dst_sel:DWORD dst_unused:UNUSED_PAD src0_sel:WORD_0 src1_sel:DWORD
	global_store_dword v2, v12, s[16:17]
	v_add_u32_e32 v2, 4, v2
	s_andn2_b64 exec, exec, s[4:5]
	s_cbranch_execnz .LBB3_4
; %bb.5:
	s_or_b64 exec, exec, s[4:5]
	v_cmp_ne_u32_e32 vcc, v1, v6
	v_add_u32_e32 v2, v0, v6
	s_orn2_b64 s[4:5], vcc, exec
.LBB3_6:
	s_or_b64 exec, exec, s[0:1]
	s_and_b64 exec, exec, s[4:5]
	s_cbranch_execz .LBB3_13
; %bb.7:
	s_add_u32 s0, s10, s14
	s_addc_u32 s1, s11, s15
	v_mov_b32_e32 v3, 0
	v_mov_b32_e32 v4, s1
	v_add_co_u32_e32 v1, vcc, s0, v2
	s_add_u32 s0, s8, s12
	v_addc_co_u32_e32 v6, vcc, 0, v4, vcc
	v_lshlrev_b64 v[4:5], 1, v[2:3]
	s_addc_u32 s1, s9, s13
	s_mov_b32 s4, 0
	v_mov_b32_e32 v3, s1
	v_add_co_u32_e32 v4, vcc, s0, v4
	v_addc_co_u32_e32 v5, vcc, v3, v5, vcc
	s_lshl_b32 s19, s28, 1
	s_mov_b64 s[0:1], 0
	s_mov_b32 s22, 0x4f000000
	s_mov_b32 s23, 0xcf000000
	s_movk_i32 s24, 0xff80
	v_mov_b32_e32 v3, 0x7f
	v_mov_b32_e32 v7, s4
	s_mov_b64 s[4:5], 0
	s_branch .LBB3_10
.LBB3_8:                                ;   in Loop: Header=BB3_10 Depth=1
	s_or_b64 exec, exec, s[20:21]
.LBB3_9:                                ;   in Loop: Header=BB3_10 Depth=1
	s_or_b64 exec, exec, s[6:7]
	v_mov_b32_e32 v9, s5
	v_add_co_u32_e32 v10, vcc, s4, v1
	v_add_u32_e32 v8, s29, v8
	v_addc_co_u32_e32 v11, vcc, v6, v9, vcc
	v_med3_i32 v8, v8, s24, v3
	s_add_u32 s4, s4, s28
	global_store_byte v[10:11], v8, off
	v_add_u32_e32 v8, s4, v2
	s_addc_u32 s5, s5, 0
	v_cmp_le_i32_e32 vcc, s18, v8
	s_or_b64 s[0:1], vcc, s[0:1]
	v_add_co_u32_e32 v4, vcc, s19, v4
	v_addc_co_u32_e32 v5, vcc, v5, v7, vcc
	s_andn2_b64 exec, exec, s[0:1]
	s_cbranch_execz .LBB3_13
.LBB3_10:                               ; =>This Inner Loop Header: Depth=1
	global_load_ushort v8, v[4:5], off
	s_waitcnt vmcnt(0)
	v_cvt_f32_f16_e32 v8, v8
	v_mul_f32_e32 v8, v38, v8
	v_rndne_f32_e32 v9, v8
	v_cmp_nle_f32_e32 vcc, s22, v9
	v_bfrev_b32_e32 v8, -2
	s_and_saveexec_b64 s[6:7], vcc
	s_cbranch_execz .LBB3_9
; %bb.11:                               ;   in Loop: Header=BB3_10 Depth=1
	v_cmp_nge_f32_e32 vcc, s23, v9
	v_bfrev_b32_e32 v8, 1
	s_and_saveexec_b64 s[20:21], vcc
	s_cbranch_execz .LBB3_8
; %bb.12:                               ;   in Loop: Header=BB3_10 Depth=1
	v_cvt_i32_f32_e32 v8, v9
	s_branch .LBB3_8
.LBB3_13:
	s_or_b64 exec, exec, s[2:3]
	s_ashr_i32 s19, s18, 31
	s_lshl_b64 s[20:21], s[18:19], 1
	s_add_u32 s35, s30, s20
	s_addc_u32 s37, s31, s21
	s_add_u32 s36, s16, s18
	s_addc_u32 s38, s17, s19
	s_sub_i32 s34, s33, s18
	s_ashr_i32 s0, s34, 31
	s_lshr_b32 s0, s0, 28
	s_add_i32 s0, s34, s0
	s_ashr_i32 s39, s0, 4
	v_cmp_gt_i32_e32 vcc, s39, v0
	s_and_saveexec_b64 s[22:23], vcc
	s_cbranch_execz .LBB3_85
; %bb.14:
	v_cvt_f32_u32_e32 v1, s28
	v_add_u32_e32 v2, s28, v0
	v_mov_b32_e32 v3, s28
	s_sub_i32 s2, 0, s28
	v_rcp_iflag_f32_e32 v1, v1
	v_cmp_gt_i32_e32 vcc, s39, v2
	v_max_i32_e32 v4, s39, v2
	v_addc_co_u32_e64 v2, s[0:1], v0, v3, vcc
	v_mul_f32_e32 v1, 0x4f7ffffe, v1
	v_cvt_u32_f32_e32 v1, v1
	v_sub_u32_e32 v2, v4, v2
	s_cmp_eq_u32 s28, 1
	v_mov_b32_e32 v10, v0
	v_mul_lo_u32 v3, s2, v1
	v_mul_hi_u32 v3, v1, v3
	v_add_u32_e32 v1, v1, v3
	v_mul_hi_u32 v1, v2, v1
	v_mul_lo_u32 v3, v1, s28
	v_sub_u32_e32 v2, v2, v3
	v_add_u32_e32 v4, 1, v1
	v_cmp_le_u32_e64 s[0:1], s28, v2
	v_subrev_u32_e32 v3, s28, v2
	v_cndmask_b32_e64 v1, v1, v4, s[0:1]
	v_cndmask_b32_e64 v2, v2, v3, s[0:1]
	v_add_u32_e32 v3, 1, v1
	v_cmp_le_u32_e64 s[0:1], s28, v2
	v_cndmask_b32_e64 v1, v1, v3, s[0:1]
	v_addc_co_u32_e32 v50, vcc, 1, v1, vcc
	v_cmp_lt_u32_e32 vcc, 3, v50
	s_cselect_b64 s[0:1], -1, 0
	s_and_b64 s[2:3], vcc, s[0:1]
	s_mov_b64 s[0:1], -1
	s_and_saveexec_b64 s[24:25], s[2:3]
	s_cbranch_execz .LBB3_18
; %bb.15:
	v_add_u32_e32 v3, 3, v0
	v_add_u32_e32 v2, 2, v0
	v_and_b32_e32 v51, -4, v50
	v_add_u32_e32 v1, 1, v0
	v_pk_mov_b32 v[4:5], v[2:3], v[2:3] op_sel:[0,1]
	v_mov_b32_e32 v39, v38
	s_mov_b32 s40, s29
	s_mov_b32 s41, s29
	s_mov_b32 s42, s29
	s_mov_b64 s[26:27], 0
	v_mov_b32_e32 v52, s37
	v_mov_b32_e32 v40, v38
	;; [unrolled: 1-line block ×3, first 2 shown]
	s_mov_b32 s43, 0x4f000000
	s_mov_b32 s44, 0xcf000000
	v_mov_b32_e32 v53, 0xcf000000
	v_bfrev_b32_e32 v54, -2
	s_movk_i32 s45, 0xff80
	v_mov_b32_e32 v55, 0x7f
	v_mov_b32_e32 v56, s38
	;; [unrolled: 1-line block ×4, first 2 shown]
	v_pk_mov_b32 v[2:3], v[0:1], v[0:1] op_sel:[0,1]
.LBB3_16:                               ; =>This Inner Loop Header: Depth=1
	v_mov_b32_e32 v42, v2
	v_lshlrev_b64 v[6:7], 5, v[42:43]
	v_add_co_u32_e32 v18, vcc, s35, v6
	v_mov_b32_e32 v44, v3
	v_mov_b32_e32 v45, v43
	v_addc_co_u32_e32 v19, vcc, v52, v7, vcc
	v_lshlrev_b64 v[6:7], 5, v[44:45]
	v_add_co_u32_e32 v20, vcc, s35, v6
	v_mov_b32_e32 v46, v4
	v_mov_b32_e32 v47, v43
	v_addc_co_u32_e32 v21, vcc, v52, v7, vcc
	;; [unrolled: 5-line block ×3, first 2 shown]
	v_lshlrev_b64 v[6:7], 5, v[48:49]
	v_add_co_u32_e32 v60, vcc, s35, v6
	v_addc_co_u32_e32 v61, vcc, v52, v7, vcc
	global_load_dwordx4 v[22:25], v[18:19], off
	global_load_dwordx4 v[26:29], v[20:21], off
	;; [unrolled: 1-line block ×4, first 2 shown]
	global_load_dwordx4 v[6:9], v[18:19], off offset:16
	global_load_dwordx4 v[10:13], v[20:21], off offset:16
	;; [unrolled: 1-line block ×3, first 2 shown]
                                        ; kill: killed $vgpr20 killed $vgpr21
                                        ; kill: killed $vgpr18 killed $vgpr19
                                        ; kill: killed $vgpr58 killed $vgpr59
	s_nop 0
	global_load_dwordx4 v[18:21], v[60:61], off offset:16
	v_lshlrev_b64 v[44:45], 4, v[44:45]
	v_lshlrev_b64 v[46:47], 4, v[46:47]
	;; [unrolled: 1-line block ×3, first 2 shown]
	v_add_u32_e32 v57, -4, v57
	v_add_u32_e32 v5, 4, v5
	v_add_u32_e32 v4, 4, v4
	;; [unrolled: 1-line block ×4, first 2 shown]
	s_waitcnt vmcnt(7)
	v_cvt_f32_f16_e32 v60, v22
	s_waitcnt vmcnt(6)
	v_cvt_f32_f16_e32 v61, v26
	;; [unrolled: 2-line block ×4, first 2 shown]
	v_cvt_f32_f16_sdwa v63, v26 dst_sel:DWORD dst_unused:UNUSED_PAD src0_sel:WORD_1
	v_pk_mul_f32 v[60:61], v[38:39], v[60:61]
	v_cvt_f32_f16_sdwa v62, v22 dst_sel:DWORD dst_unused:UNUSED_PAD src0_sel:WORD_1
	v_pk_mul_f32 v[58:59], v[40:41], v[58:59]
	v_rndne_f32_e32 v1, v58
	v_rndne_f32_e32 v58, v59
	v_cmp_nge_f32_e64 s[6:7], s44, v1
	v_rndne_f32_e32 v59, v60
	v_cmp_nle_f32_e64 s[4:5], s43, v1
	v_cndmask_b32_e64 v1, v53, v1, s[6:7]
	v_cmp_nge_f32_e64 s[6:7], s44, v58
	v_rndne_f32_e32 v60, v61
	v_cmp_nle_f32_e64 s[2:3], s43, v58
	v_cndmask_b32_e64 v58, v53, v58, s[6:7]
	v_cmp_nge_f32_e64 s[6:7], s44, v59
	v_cmp_nle_f32_e64 s[0:1], s43, v59
	v_cndmask_b32_e64 v59, v53, v59, s[6:7]
	v_cmp_nge_f32_e64 s[6:7], s44, v60
	v_cmp_nle_f32_e32 vcc, s43, v60
	v_cndmask_b32_e64 v60, v53, v60, s[6:7]
	v_cvt_i32_f32_e32 v60, v60
	v_cvt_i32_f32_e32 v59, v59
	v_cvt_i32_f32_e32 v58, v58
	v_cvt_f32_f16_sdwa v61, v34 dst_sel:DWORD dst_unused:UNUSED_PAD src0_sel:WORD_1
	v_cndmask_b32_e32 v60, v54, v60, vcc
	v_cndmask_b32_e64 v59, v54, v59, s[0:1]
	v_cndmask_b32_e64 v58, v54, v58, s[2:3]
	v_add_u32_e32 v60, s40, v60
	v_add_u32_e32 v59, s29, v59
	;; [unrolled: 1-line block ×3, first 2 shown]
	v_med3_i32 v64, v58, s45, v55
	v_med3_i32 v58, v59, s45, v55
	;; [unrolled: 1-line block ×3, first 2 shown]
	v_cvt_f32_f16_sdwa v60, v30 dst_sel:DWORD dst_unused:UNUSED_PAD src0_sel:WORD_1
	v_cvt_i32_f32_e32 v1, v1
	v_pk_mul_f32 v[62:63], v[38:39], v[62:63]
	v_rndne_f32_e32 v26, v62
	v_pk_mul_f32 v[60:61], v[40:41], v[60:61]
	v_rndne_f32_e32 v22, v60
	v_cmp_nge_f32_e64 s[6:7], s44, v22
	v_cndmask_b32_e64 v1, v54, v1, s[4:5]
	v_rndne_f32_e32 v30, v63
	v_cmp_nle_f32_e64 s[4:5], s43, v22
	v_cndmask_b32_e64 v22, v53, v22, s[6:7]
	v_cmp_nge_f32_e64 s[6:7], s44, v26
	v_rndne_f32_e32 v34, v61
	v_cmp_nle_f32_e64 s[2:3], s43, v26
	v_cndmask_b32_e64 v26, v53, v26, s[6:7]
	v_cmp_nge_f32_e64 s[6:7], s44, v30
	v_cmp_nle_f32_e64 s[0:1], s43, v30
	v_cndmask_b32_e64 v30, v53, v30, s[6:7]
	v_cmp_nge_f32_e64 s[6:7], s44, v34
	v_cmp_nle_f32_e32 vcc, s43, v34
	v_cndmask_b32_e64 v34, v53, v34, s[6:7]
	v_cvt_i32_f32_e32 v30, v30
	v_cvt_i32_f32_e32 v34, v34
	;; [unrolled: 1-line block ×4, first 2 shown]
	v_cvt_f32_f16_e32 v61, v35
	v_cvt_f32_f16_e32 v60, v31
	v_cndmask_b32_e64 v30, v54, v30, s[0:1]
	v_cvt_f32_f16_e32 v63, v27
	v_cvt_f32_f16_e32 v62, v23
	v_lshlrev_b16_e32 v59, 8, v59
	v_cndmask_b32_e64 v22, v54, v22, s[4:5]
	v_cndmask_b32_e64 v26, v54, v26, s[2:3]
	v_cndmask_b32_e32 v34, v54, v34, vcc
	v_add_u32_e32 v30, s40, v30
	v_or_b32_sdwa v58, v58, v59 dst_sel:DWORD dst_unused:UNUSED_PAD src0_sel:BYTE_0 src1_sel:DWORD
	v_add_u32_e32 v34, s42, v34
	v_add_u32_e32 v59, s29, v26
	;; [unrolled: 1-line block ×3, first 2 shown]
	v_med3_i32 v30, v30, s45, v55
	v_pk_mul_f32 v[60:61], v[40:41], v[60:61]
	v_med3_i32 v26, v22, s45, v55
	v_med3_i32 v59, v59, s45, v55
	;; [unrolled: 1-line block ×3, first 2 shown]
	v_lshlrev_b16_e32 v30, 8, v30
	v_rndne_f32_e32 v34, v60
	v_or_b32_sdwa v30, v59, v30 dst_sel:DWORD dst_unused:UNUSED_PAD src0_sel:BYTE_0 src1_sel:DWORD
	v_pk_mul_f32 v[62:63], v[38:39], v[62:63]
	v_rndne_f32_e32 v59, v61
	v_cmp_nge_f32_e64 s[6:7], s44, v34
	v_rndne_f32_e32 v60, v62
	v_cmp_nle_f32_e64 s[4:5], s43, v34
	v_cndmask_b32_e64 v34, v53, v34, s[6:7]
	v_cmp_nge_f32_e64 s[6:7], s44, v59
	v_rndne_f32_e32 v61, v63
	v_cmp_nle_f32_e64 s[2:3], s43, v59
	v_cndmask_b32_e64 v59, v53, v59, s[6:7]
	v_cmp_nge_f32_e64 s[6:7], s44, v60
	v_cmp_nle_f32_e64 s[0:1], s43, v60
	v_cndmask_b32_e64 v60, v53, v60, s[6:7]
	v_cmp_nge_f32_e64 s[6:7], s44, v61
	v_cmp_nle_f32_e32 vcc, s43, v61
	v_cndmask_b32_e64 v61, v53, v61, s[6:7]
	v_cvt_i32_f32_e32 v61, v61
	v_cvt_i32_f32_e32 v60, v60
	;; [unrolled: 1-line block ×3, first 2 shown]
	v_lshlrev_b16_e32 v22, 8, v22
	v_cndmask_b32_e32 v61, v54, v61, vcc
	v_cndmask_b32_e64 v60, v54, v60, s[0:1]
	v_cndmask_b32_e64 v59, v54, v59, s[2:3]
	v_add_u32_e32 v61, s40, v61
	v_add_u32_e32 v60, s29, v60
	;; [unrolled: 1-line block ×3, first 2 shown]
	v_or_b32_sdwa v22, v64, v22 dst_sel:DWORD dst_unused:UNUSED_PAD src0_sel:BYTE_0 src1_sel:DWORD
	v_med3_i32 v64, v59, s45, v55
	v_med3_i32 v59, v60, s45, v55
	;; [unrolled: 1-line block ×3, first 2 shown]
	v_lshlrev_b16_e32 v60, 8, v60
	v_or_b32_sdwa v59, v59, v60 dst_sel:DWORD dst_unused:UNUSED_PAD src0_sel:BYTE_0 src1_sel:DWORD
	v_cvt_f32_f16_sdwa v61, v35 dst_sel:DWORD dst_unused:UNUSED_PAD src0_sel:WORD_1
	v_cvt_f32_f16_sdwa v60, v31 dst_sel:DWORD dst_unused:UNUSED_PAD src0_sel:WORD_1
	;; [unrolled: 1-line block ×4, first 2 shown]
	v_cvt_i32_f32_e32 v34, v34
	v_pk_mul_f32 v[60:61], v[40:41], v[60:61]
	v_rndne_f32_e32 v23, v60
	v_pk_mul_f32 v[62:63], v[38:39], v[62:63]
	v_rndne_f32_e32 v27, v62
	v_cmp_nge_f32_e64 s[6:7], s44, v23
	v_cndmask_b32_e64 v34, v54, v34, s[4:5]
	v_rndne_f32_e32 v31, v63
	v_cmp_nle_f32_e64 s[4:5], s43, v23
	v_cndmask_b32_e64 v23, v53, v23, s[6:7]
	v_cmp_nge_f32_e64 s[6:7], s44, v27
	v_cmp_nle_f32_e64 s[2:3], s43, v27
	v_cndmask_b32_e64 v27, v53, v27, s[6:7]
	v_cmp_nge_f32_e64 s[6:7], s44, v31
	v_cmp_nle_f32_e64 s[0:1], s43, v31
	v_cndmask_b32_e64 v31, v53, v31, s[6:7]
	v_cvt_i32_f32_e32 v31, v31
	v_cvt_i32_f32_e32 v27, v27
	v_rndne_f32_e32 v35, v61
	v_cmp_nge_f32_e64 s[6:7], s44, v35
	v_cndmask_b32_e64 v31, v54, v31, s[0:1]
	v_cndmask_b32_e64 v27, v54, v27, s[2:3]
	v_add_u32_e32 v31, s40, v31
	v_cmp_nle_f32_e32 vcc, s43, v35
	v_cndmask_b32_e64 v35, v53, v35, s[6:7]
	v_add_u32_e32 v60, s29, v27
	v_med3_i32 v31, v31, s45, v55
	v_cvt_i32_f32_e32 v35, v35
	v_cvt_i32_f32_e32 v23, v23
	v_med3_i32 v60, v60, s45, v55
	v_lshlrev_b16_e32 v31, 8, v31
	v_or_b32_sdwa v31, v60, v31 dst_sel:DWORD dst_unused:UNUSED_PAD src0_sel:BYTE_0 src1_sel:DWORD
	v_cvt_f32_f16_e32 v61, v36
	v_cvt_f32_f16_e32 v60, v32
	v_cvt_f32_f16_e32 v63, v28
	v_cvt_f32_f16_e32 v62, v24
	v_cndmask_b32_e64 v23, v54, v23, s[4:5]
	v_cndmask_b32_e32 v35, v54, v35, vcc
	v_add_u32_e32 v35, s42, v35
	v_add_u32_e32 v23, s41, v23
	v_pk_mul_f32 v[60:61], v[40:41], v[60:61]
	v_med3_i32 v27, v23, s45, v55
	v_med3_i32 v23, v35, s45, v55
	v_rndne_f32_e32 v35, v60
	v_pk_mul_f32 v[62:63], v[38:39], v[62:63]
	v_rndne_f32_e32 v60, v61
	v_cmp_nge_f32_e64 s[6:7], s44, v35
	v_rndne_f32_e32 v61, v62
	v_cmp_nle_f32_e64 s[4:5], s43, v35
	v_cndmask_b32_e64 v35, v53, v35, s[6:7]
	v_cmp_nge_f32_e64 s[6:7], s44, v60
	v_rndne_f32_e32 v62, v63
	v_cmp_nle_f32_e64 s[2:3], s43, v60
	v_cndmask_b32_e64 v60, v53, v60, s[6:7]
	v_cmp_nge_f32_e64 s[6:7], s44, v61
	v_cmp_nle_f32_e64 s[0:1], s43, v61
	v_cndmask_b32_e64 v61, v53, v61, s[6:7]
	v_cmp_nge_f32_e64 s[6:7], s44, v62
	v_cmp_nle_f32_e32 vcc, s43, v62
	v_cndmask_b32_e64 v62, v53, v62, s[6:7]
	v_cvt_i32_f32_e32 v62, v62
	v_cvt_i32_f32_e32 v61, v61
	;; [unrolled: 1-line block ×3, first 2 shown]
	v_lshlrev_b16_e32 v23, 8, v23
	v_cndmask_b32_e32 v62, v54, v62, vcc
	v_cndmask_b32_e64 v61, v54, v61, s[0:1]
	v_cndmask_b32_e64 v60, v54, v60, s[2:3]
	v_add_u32_e32 v62, s40, v62
	v_add_u32_e32 v61, s29, v61
	;; [unrolled: 1-line block ×3, first 2 shown]
	v_med3_i32 v66, v60, s45, v55
	v_med3_i32 v60, v61, s45, v55
	;; [unrolled: 1-line block ×3, first 2 shown]
	v_cvt_f32_f16_sdwa v63, v36 dst_sel:DWORD dst_unused:UNUSED_PAD src0_sel:WORD_1
	v_cvt_f32_f16_sdwa v62, v32 dst_sel:DWORD dst_unused:UNUSED_PAD src0_sel:WORD_1
	v_or_b32_sdwa v23, v64, v23 dst_sel:WORD_1 dst_unused:UNUSED_PAD src0_sel:BYTE_0 src1_sel:DWORD
	v_cvt_f32_f16_sdwa v65, v28 dst_sel:DWORD dst_unused:UNUSED_PAD src0_sel:WORD_1
	v_cvt_f32_f16_sdwa v64, v24 dst_sel:DWORD dst_unused:UNUSED_PAD src0_sel:WORD_1
	v_cvt_i32_f32_e32 v35, v35
	v_pk_mul_f32 v[62:63], v[40:41], v[62:63]
	v_rndne_f32_e32 v24, v62
	v_pk_mul_f32 v[64:65], v[38:39], v[64:65]
	v_rndne_f32_e32 v28, v64
	v_cmp_nge_f32_e64 s[6:7], s44, v24
	v_cndmask_b32_e64 v35, v54, v35, s[4:5]
	v_rndne_f32_e32 v32, v65
	v_cmp_nle_f32_e64 s[4:5], s43, v24
	v_cndmask_b32_e64 v24, v53, v24, s[6:7]
	v_cmp_nge_f32_e64 s[6:7], s44, v28
	v_rndne_f32_e32 v36, v63
	v_cmp_nle_f32_e64 s[2:3], s43, v28
	v_cndmask_b32_e64 v28, v53, v28, s[6:7]
	v_cmp_nge_f32_e64 s[6:7], s44, v32
	v_cmp_nle_f32_e64 s[0:1], s43, v32
	v_cndmask_b32_e64 v32, v53, v32, s[6:7]
	v_cmp_nge_f32_e64 s[6:7], s44, v36
	v_cmp_nle_f32_e32 vcc, s43, v36
	v_cndmask_b32_e64 v36, v53, v36, s[6:7]
	v_cvt_i32_f32_e32 v32, v32
	v_cvt_i32_f32_e32 v36, v36
	;; [unrolled: 1-line block ×4, first 2 shown]
	v_cvt_f32_f16_e32 v63, v37
	v_cvt_f32_f16_e32 v62, v33
	v_cndmask_b32_e64 v32, v54, v32, s[0:1]
	v_cvt_f32_f16_e32 v65, v29
	v_cvt_f32_f16_e32 v64, v25
	v_lshlrev_b16_e32 v61, 8, v61
	v_cndmask_b32_e64 v24, v54, v24, s[4:5]
	v_cndmask_b32_e64 v28, v54, v28, s[2:3]
	v_cndmask_b32_e32 v36, v54, v36, vcc
	v_add_u32_e32 v32, s40, v32
	v_or_b32_sdwa v60, v60, v61 dst_sel:DWORD dst_unused:UNUSED_PAD src0_sel:BYTE_0 src1_sel:DWORD
	v_add_u32_e32 v36, s42, v36
	v_add_u32_e32 v61, s29, v28
	;; [unrolled: 1-line block ×3, first 2 shown]
	v_med3_i32 v32, v32, s45, v55
	v_pk_mul_f32 v[62:63], v[40:41], v[62:63]
	v_med3_i32 v28, v24, s45, v55
	v_med3_i32 v61, v61, s45, v55
	;; [unrolled: 1-line block ×3, first 2 shown]
	v_lshlrev_b16_e32 v32, 8, v32
	v_rndne_f32_e32 v36, v62
	v_or_b32_sdwa v32, v61, v32 dst_sel:DWORD dst_unused:UNUSED_PAD src0_sel:BYTE_0 src1_sel:DWORD
	v_pk_mul_f32 v[64:65], v[38:39], v[64:65]
	v_rndne_f32_e32 v61, v63
	v_cmp_nge_f32_e64 s[6:7], s44, v36
	v_rndne_f32_e32 v62, v64
	v_cmp_nle_f32_e64 s[4:5], s43, v36
	v_cndmask_b32_e64 v36, v53, v36, s[6:7]
	v_cmp_nge_f32_e64 s[6:7], s44, v61
	v_rndne_f32_e32 v63, v65
	v_cmp_nle_f32_e64 s[2:3], s43, v61
	v_cndmask_b32_e64 v61, v53, v61, s[6:7]
	v_cmp_nge_f32_e64 s[6:7], s44, v62
	v_cmp_nle_f32_e64 s[0:1], s43, v62
	v_cndmask_b32_e64 v62, v53, v62, s[6:7]
	v_cmp_nge_f32_e64 s[6:7], s44, v63
	v_cmp_nle_f32_e32 vcc, s43, v63
	v_cndmask_b32_e64 v63, v53, v63, s[6:7]
	v_cvt_i32_f32_e32 v63, v63
	v_cvt_i32_f32_e32 v62, v62
	;; [unrolled: 1-line block ×3, first 2 shown]
	v_lshlrev_b16_e32 v24, 8, v24
	v_cndmask_b32_e32 v63, v54, v63, vcc
	v_cndmask_b32_e64 v62, v54, v62, s[0:1]
	v_cndmask_b32_e64 v61, v54, v61, s[2:3]
	v_add_u32_e32 v63, s40, v63
	v_add_u32_e32 v62, s29, v62
	;; [unrolled: 1-line block ×3, first 2 shown]
	v_or_b32_sdwa v24, v66, v24 dst_sel:DWORD dst_unused:UNUSED_PAD src0_sel:BYTE_0 src1_sel:DWORD
	v_med3_i32 v66, v61, s45, v55
	v_med3_i32 v61, v62, s45, v55
	;; [unrolled: 1-line block ×3, first 2 shown]
	v_lshlrev_b16_e32 v62, 8, v62
	v_or_b32_sdwa v61, v61, v62 dst_sel:DWORD dst_unused:UNUSED_PAD src0_sel:BYTE_0 src1_sel:DWORD
	v_cvt_f32_f16_sdwa v63, v37 dst_sel:DWORD dst_unused:UNUSED_PAD src0_sel:WORD_1
	v_cvt_f32_f16_sdwa v62, v33 dst_sel:DWORD dst_unused:UNUSED_PAD src0_sel:WORD_1
	;; [unrolled: 1-line block ×4, first 2 shown]
	v_cvt_i32_f32_e32 v36, v36
	v_pk_mul_f32 v[62:63], v[40:41], v[62:63]
	v_rndne_f32_e32 v25, v62
	v_pk_mul_f32 v[64:65], v[38:39], v[64:65]
	v_rndne_f32_e32 v29, v64
	v_cmp_nge_f32_e64 s[6:7], s44, v25
	v_cndmask_b32_e64 v36, v54, v36, s[4:5]
	v_rndne_f32_e32 v33, v65
	v_cmp_nle_f32_e64 s[4:5], s43, v25
	v_cndmask_b32_e64 v25, v53, v25, s[6:7]
	v_cmp_nge_f32_e64 s[6:7], s44, v29
	v_cmp_nle_f32_e64 s[2:3], s43, v29
	v_cndmask_b32_e64 v29, v53, v29, s[6:7]
	v_cmp_nge_f32_e64 s[6:7], s44, v33
	v_cmp_nle_f32_e64 s[0:1], s43, v33
	v_cndmask_b32_e64 v33, v53, v33, s[6:7]
	v_cvt_i32_f32_e32 v33, v33
	v_cvt_i32_f32_e32 v29, v29
	v_rndne_f32_e32 v37, v63
	v_cmp_nge_f32_e64 s[6:7], s44, v37
	v_cndmask_b32_e64 v33, v54, v33, s[0:1]
	v_cndmask_b32_e64 v29, v54, v29, s[2:3]
	v_add_u32_e32 v33, s40, v33
	v_cmp_nle_f32_e32 vcc, s43, v37
	v_cndmask_b32_e64 v37, v53, v37, s[6:7]
	v_add_u32_e32 v62, s29, v29
	v_med3_i32 v33, v33, s45, v55
	v_cvt_i32_f32_e32 v37, v37
	v_cvt_i32_f32_e32 v25, v25
	v_med3_i32 v62, v62, s45, v55
	v_lshlrev_b16_e32 v33, 8, v33
	v_or_b32_sdwa v33, v62, v33 dst_sel:DWORD dst_unused:UNUSED_PAD src0_sel:BYTE_0 src1_sel:DWORD
	s_waitcnt vmcnt(0)
	v_cvt_f32_f16_e32 v63, v18
	v_cvt_f32_f16_e32 v62, v14
	;; [unrolled: 1-line block ×4, first 2 shown]
	v_cndmask_b32_e64 v25, v54, v25, s[4:5]
	v_cndmask_b32_e32 v37, v54, v37, vcc
	v_add_u32_e32 v37, s42, v37
	v_add_u32_e32 v25, s41, v25
	v_pk_mul_f32 v[62:63], v[40:41], v[62:63]
	v_med3_i32 v29, v25, s45, v55
	v_med3_i32 v25, v37, s45, v55
	v_rndne_f32_e32 v37, v62
	v_pk_mul_f32 v[64:65], v[38:39], v[64:65]
	v_rndne_f32_e32 v62, v63
	v_cmp_nge_f32_e64 s[6:7], s44, v37
	v_rndne_f32_e32 v63, v64
	v_cmp_nle_f32_e64 s[4:5], s43, v37
	v_cndmask_b32_e64 v37, v53, v37, s[6:7]
	v_cmp_nge_f32_e64 s[6:7], s44, v62
	v_rndne_f32_e32 v64, v65
	v_cmp_nle_f32_e64 s[2:3], s43, v62
	v_cndmask_b32_e64 v62, v53, v62, s[6:7]
	v_cmp_nge_f32_e64 s[6:7], s44, v63
	v_cmp_nle_f32_e64 s[0:1], s43, v63
	v_cndmask_b32_e64 v63, v53, v63, s[6:7]
	v_cmp_nge_f32_e64 s[6:7], s44, v64
	v_cmp_nle_f32_e32 vcc, s43, v64
	v_cndmask_b32_e64 v64, v53, v64, s[6:7]
	v_cvt_i32_f32_e32 v64, v64
	v_cvt_i32_f32_e32 v63, v63
	;; [unrolled: 1-line block ×3, first 2 shown]
	v_lshlrev_b16_e32 v25, 8, v25
	v_cndmask_b32_e32 v64, v54, v64, vcc
	v_cndmask_b32_e64 v63, v54, v63, s[0:1]
	v_cndmask_b32_e64 v62, v54, v62, s[2:3]
	v_add_u32_e32 v64, s40, v64
	v_add_u32_e32 v63, s29, v63
	;; [unrolled: 1-line block ×3, first 2 shown]
	v_med3_i32 v68, v62, s45, v55
	v_med3_i32 v62, v63, s45, v55
	v_med3_i32 v63, v64, s45, v55
	v_cvt_f32_f16_sdwa v65, v18 dst_sel:DWORD dst_unused:UNUSED_PAD src0_sel:WORD_1
	v_cvt_f32_f16_sdwa v64, v14 dst_sel:DWORD dst_unused:UNUSED_PAD src0_sel:WORD_1
	v_or_b32_sdwa v25, v66, v25 dst_sel:WORD_1 dst_unused:UNUSED_PAD src0_sel:BYTE_0 src1_sel:DWORD
	v_cvt_f32_f16_sdwa v67, v10 dst_sel:DWORD dst_unused:UNUSED_PAD src0_sel:WORD_1
	v_cvt_f32_f16_sdwa v66, v6 dst_sel:DWORD dst_unused:UNUSED_PAD src0_sel:WORD_1
	v_cvt_i32_f32_e32 v37, v37
	v_pk_mul_f32 v[64:65], v[40:41], v[64:65]
	v_rndne_f32_e32 v6, v64
	v_pk_mul_f32 v[66:67], v[38:39], v[66:67]
	v_rndne_f32_e32 v10, v66
	v_cmp_nge_f32_e64 s[6:7], s44, v6
	v_cndmask_b32_e64 v37, v54, v37, s[4:5]
	v_rndne_f32_e32 v14, v67
	v_cmp_nle_f32_e64 s[4:5], s43, v6
	v_cndmask_b32_e64 v6, v53, v6, s[6:7]
	v_cmp_nge_f32_e64 s[6:7], s44, v10
	v_rndne_f32_e32 v18, v65
	v_cmp_nle_f32_e64 s[2:3], s43, v10
	v_cndmask_b32_e64 v10, v53, v10, s[6:7]
	v_cmp_nge_f32_e64 s[6:7], s44, v14
	v_cmp_nle_f32_e64 s[0:1], s43, v14
	v_cndmask_b32_e64 v14, v53, v14, s[6:7]
	v_cmp_nge_f32_e64 s[6:7], s44, v18
	v_cmp_nle_f32_e32 vcc, s43, v18
	v_cndmask_b32_e64 v18, v53, v18, s[6:7]
	v_cvt_i32_f32_e32 v14, v14
	v_cvt_i32_f32_e32 v18, v18
	;; [unrolled: 1-line block ×4, first 2 shown]
	v_cvt_f32_f16_e32 v65, v19
	v_cvt_f32_f16_e32 v64, v15
	v_cndmask_b32_e64 v14, v54, v14, s[0:1]
	v_cvt_f32_f16_e32 v67, v11
	v_cvt_f32_f16_e32 v66, v7
	v_lshlrev_b16_e32 v63, 8, v63
	v_cndmask_b32_e64 v6, v54, v6, s[4:5]
	v_cndmask_b32_e64 v10, v54, v10, s[2:3]
	v_cndmask_b32_e32 v18, v54, v18, vcc
	v_add_u32_e32 v14, s40, v14
	v_or_b32_sdwa v62, v62, v63 dst_sel:DWORD dst_unused:UNUSED_PAD src0_sel:BYTE_0 src1_sel:DWORD
	v_add_u32_e32 v18, s42, v18
	v_add_u32_e32 v63, s29, v10
	;; [unrolled: 1-line block ×3, first 2 shown]
	v_med3_i32 v14, v14, s45, v55
	v_pk_mul_f32 v[64:65], v[40:41], v[64:65]
	v_med3_i32 v10, v6, s45, v55
	v_med3_i32 v63, v63, s45, v55
	;; [unrolled: 1-line block ×3, first 2 shown]
	v_lshlrev_b16_e32 v14, 8, v14
	v_rndne_f32_e32 v18, v64
	v_or_b32_sdwa v14, v63, v14 dst_sel:DWORD dst_unused:UNUSED_PAD src0_sel:BYTE_0 src1_sel:DWORD
	v_pk_mul_f32 v[66:67], v[38:39], v[66:67]
	v_rndne_f32_e32 v63, v65
	v_cmp_nge_f32_e64 s[6:7], s44, v18
	v_rndne_f32_e32 v64, v66
	v_cmp_nle_f32_e64 s[4:5], s43, v18
	v_cndmask_b32_e64 v18, v53, v18, s[6:7]
	v_cmp_nge_f32_e64 s[6:7], s44, v63
	v_rndne_f32_e32 v65, v67
	v_cmp_nle_f32_e64 s[2:3], s43, v63
	v_cndmask_b32_e64 v63, v53, v63, s[6:7]
	v_cmp_nge_f32_e64 s[6:7], s44, v64
	v_cmp_nle_f32_e64 s[0:1], s43, v64
	v_cndmask_b32_e64 v64, v53, v64, s[6:7]
	v_cmp_nge_f32_e64 s[6:7], s44, v65
	v_cmp_nle_f32_e32 vcc, s43, v65
	v_cndmask_b32_e64 v65, v53, v65, s[6:7]
	v_cvt_i32_f32_e32 v65, v65
	v_cvt_i32_f32_e32 v64, v64
	;; [unrolled: 1-line block ×3, first 2 shown]
	v_lshlrev_b16_e32 v6, 8, v6
	v_cndmask_b32_e32 v65, v54, v65, vcc
	v_cndmask_b32_e64 v64, v54, v64, s[0:1]
	v_cndmask_b32_e64 v63, v54, v63, s[2:3]
	v_add_u32_e32 v65, s40, v65
	v_add_u32_e32 v64, s29, v64
	;; [unrolled: 1-line block ×3, first 2 shown]
	v_or_b32_sdwa v6, v68, v6 dst_sel:DWORD dst_unused:UNUSED_PAD src0_sel:BYTE_0 src1_sel:DWORD
	v_med3_i32 v68, v63, s45, v55
	v_med3_i32 v63, v64, s45, v55
	;; [unrolled: 1-line block ×3, first 2 shown]
	v_lshlrev_b16_e32 v64, 8, v64
	v_or_b32_sdwa v63, v63, v64 dst_sel:DWORD dst_unused:UNUSED_PAD src0_sel:BYTE_0 src1_sel:DWORD
	v_cvt_f32_f16_sdwa v65, v19 dst_sel:DWORD dst_unused:UNUSED_PAD src0_sel:WORD_1
	v_cvt_f32_f16_sdwa v64, v15 dst_sel:DWORD dst_unused:UNUSED_PAD src0_sel:WORD_1
	;; [unrolled: 1-line block ×4, first 2 shown]
	v_cvt_i32_f32_e32 v18, v18
	v_pk_mul_f32 v[64:65], v[40:41], v[64:65]
	v_rndne_f32_e32 v7, v64
	v_pk_mul_f32 v[66:67], v[38:39], v[66:67]
	v_rndne_f32_e32 v11, v66
	v_cmp_nge_f32_e64 s[6:7], s44, v7
	v_cndmask_b32_e64 v18, v54, v18, s[4:5]
	v_rndne_f32_e32 v15, v67
	v_cmp_nle_f32_e64 s[4:5], s43, v7
	v_cndmask_b32_e64 v7, v53, v7, s[6:7]
	v_cmp_nge_f32_e64 s[6:7], s44, v11
	v_cmp_nle_f32_e64 s[2:3], s43, v11
	v_cndmask_b32_e64 v11, v53, v11, s[6:7]
	v_cmp_nge_f32_e64 s[6:7], s44, v15
	v_cmp_nle_f32_e64 s[0:1], s43, v15
	v_cndmask_b32_e64 v15, v53, v15, s[6:7]
	v_cvt_i32_f32_e32 v15, v15
	v_cvt_i32_f32_e32 v11, v11
	v_rndne_f32_e32 v19, v65
	v_cmp_nge_f32_e64 s[6:7], s44, v19
	v_cndmask_b32_e64 v15, v54, v15, s[0:1]
	v_cndmask_b32_e64 v11, v54, v11, s[2:3]
	v_add_u32_e32 v15, s40, v15
	v_cmp_nle_f32_e32 vcc, s43, v19
	v_cndmask_b32_e64 v19, v53, v19, s[6:7]
	v_add_u32_e32 v64, s29, v11
	v_med3_i32 v15, v15, s45, v55
	v_cvt_i32_f32_e32 v19, v19
	v_cvt_i32_f32_e32 v7, v7
	v_med3_i32 v64, v64, s45, v55
	v_lshlrev_b16_e32 v15, 8, v15
	v_or_b32_sdwa v15, v64, v15 dst_sel:DWORD dst_unused:UNUSED_PAD src0_sel:BYTE_0 src1_sel:DWORD
	v_cvt_f32_f16_e32 v65, v20
	v_cvt_f32_f16_e32 v64, v16
	;; [unrolled: 1-line block ×4, first 2 shown]
	v_cndmask_b32_e64 v7, v54, v7, s[4:5]
	v_cndmask_b32_e32 v19, v54, v19, vcc
	v_add_u32_e32 v19, s42, v19
	v_add_u32_e32 v7, s41, v7
	v_pk_mul_f32 v[64:65], v[40:41], v[64:65]
	v_med3_i32 v11, v7, s45, v55
	v_med3_i32 v7, v19, s45, v55
	v_rndne_f32_e32 v19, v64
	v_pk_mul_f32 v[66:67], v[38:39], v[66:67]
	v_rndne_f32_e32 v64, v65
	v_cmp_nge_f32_e64 s[6:7], s44, v19
	v_rndne_f32_e32 v65, v66
	v_cmp_nle_f32_e64 s[4:5], s43, v19
	v_cndmask_b32_e64 v19, v53, v19, s[6:7]
	v_cmp_nge_f32_e64 s[6:7], s44, v64
	v_rndne_f32_e32 v66, v67
	v_cmp_nle_f32_e64 s[2:3], s43, v64
	v_cndmask_b32_e64 v64, v53, v64, s[6:7]
	v_cmp_nge_f32_e64 s[6:7], s44, v65
	v_cmp_nle_f32_e64 s[0:1], s43, v65
	v_cndmask_b32_e64 v65, v53, v65, s[6:7]
	v_cmp_nge_f32_e64 s[6:7], s44, v66
	v_cmp_nle_f32_e32 vcc, s43, v66
	v_cndmask_b32_e64 v66, v53, v66, s[6:7]
	v_cvt_i32_f32_e32 v66, v66
	v_cvt_i32_f32_e32 v65, v65
	;; [unrolled: 1-line block ×3, first 2 shown]
	v_lshlrev_b16_e32 v7, 8, v7
	v_cndmask_b32_e32 v66, v54, v66, vcc
	v_cndmask_b32_e64 v65, v54, v65, s[0:1]
	v_cndmask_b32_e64 v64, v54, v64, s[2:3]
	v_add_u32_e32 v66, s40, v66
	v_add_u32_e32 v65, s29, v65
	;; [unrolled: 1-line block ×3, first 2 shown]
	v_med3_i32 v70, v64, s45, v55
	v_med3_i32 v64, v65, s45, v55
	;; [unrolled: 1-line block ×3, first 2 shown]
	v_cvt_f32_f16_sdwa v67, v20 dst_sel:DWORD dst_unused:UNUSED_PAD src0_sel:WORD_1
	v_cvt_f32_f16_sdwa v66, v16 dst_sel:DWORD dst_unused:UNUSED_PAD src0_sel:WORD_1
	v_or_b32_sdwa v7, v68, v7 dst_sel:WORD_1 dst_unused:UNUSED_PAD src0_sel:BYTE_0 src1_sel:DWORD
	v_cvt_f32_f16_sdwa v69, v12 dst_sel:DWORD dst_unused:UNUSED_PAD src0_sel:WORD_1
	v_cvt_f32_f16_sdwa v68, v8 dst_sel:DWORD dst_unused:UNUSED_PAD src0_sel:WORD_1
	v_cvt_i32_f32_e32 v19, v19
	v_pk_mul_f32 v[66:67], v[40:41], v[66:67]
	v_rndne_f32_e32 v8, v66
	v_pk_mul_f32 v[68:69], v[38:39], v[68:69]
	v_rndne_f32_e32 v12, v68
	v_cmp_nge_f32_e64 s[6:7], s44, v8
	v_cndmask_b32_e64 v19, v54, v19, s[4:5]
	v_rndne_f32_e32 v16, v69
	v_cmp_nle_f32_e64 s[4:5], s43, v8
	v_cndmask_b32_e64 v8, v53, v8, s[6:7]
	v_cmp_nge_f32_e64 s[6:7], s44, v12
	v_rndne_f32_e32 v20, v67
	v_cmp_nle_f32_e64 s[2:3], s43, v12
	v_cndmask_b32_e64 v12, v53, v12, s[6:7]
	v_cmp_nge_f32_e64 s[6:7], s44, v16
	v_cmp_nle_f32_e64 s[0:1], s43, v16
	v_cndmask_b32_e64 v16, v53, v16, s[6:7]
	v_cmp_nge_f32_e64 s[6:7], s44, v20
	v_cmp_nle_f32_e32 vcc, s43, v20
	v_cndmask_b32_e64 v20, v53, v20, s[6:7]
	v_cvt_i32_f32_e32 v16, v16
	v_cvt_i32_f32_e32 v20, v20
	;; [unrolled: 1-line block ×4, first 2 shown]
	v_cvt_f32_f16_e32 v67, v21
	v_cvt_f32_f16_e32 v66, v17
	v_cndmask_b32_e64 v16, v54, v16, s[0:1]
	v_cvt_f32_f16_e32 v69, v13
	v_cvt_f32_f16_e32 v68, v9
	v_lshlrev_b16_e32 v65, 8, v65
	v_cndmask_b32_e64 v8, v54, v8, s[4:5]
	v_cndmask_b32_e64 v12, v54, v12, s[2:3]
	v_cndmask_b32_e32 v20, v54, v20, vcc
	v_add_u32_e32 v16, s40, v16
	v_or_b32_sdwa v64, v64, v65 dst_sel:DWORD dst_unused:UNUSED_PAD src0_sel:BYTE_0 src1_sel:DWORD
	v_add_u32_e32 v20, s42, v20
	v_add_u32_e32 v65, s29, v12
	;; [unrolled: 1-line block ×3, first 2 shown]
	v_med3_i32 v16, v16, s45, v55
	v_pk_mul_f32 v[66:67], v[40:41], v[66:67]
	v_med3_i32 v12, v8, s45, v55
	v_med3_i32 v65, v65, s45, v55
	;; [unrolled: 1-line block ×3, first 2 shown]
	v_lshlrev_b16_e32 v16, 8, v16
	v_rndne_f32_e32 v20, v66
	v_or_b32_sdwa v16, v65, v16 dst_sel:DWORD dst_unused:UNUSED_PAD src0_sel:BYTE_0 src1_sel:DWORD
	v_pk_mul_f32 v[68:69], v[38:39], v[68:69]
	v_rndne_f32_e32 v65, v67
	v_cmp_nge_f32_e64 s[6:7], s44, v20
	v_rndne_f32_e32 v66, v68
	v_cmp_nle_f32_e64 s[4:5], s43, v20
	v_cndmask_b32_e64 v20, v53, v20, s[6:7]
	v_cmp_nge_f32_e64 s[6:7], s44, v65
	v_rndne_f32_e32 v67, v69
	v_cmp_nle_f32_e64 s[2:3], s43, v65
	v_cndmask_b32_e64 v65, v53, v65, s[6:7]
	v_cmp_nge_f32_e64 s[6:7], s44, v66
	v_cmp_nle_f32_e64 s[0:1], s43, v66
	v_cndmask_b32_e64 v66, v53, v66, s[6:7]
	v_cmp_nge_f32_e64 s[6:7], s44, v67
	v_cmp_nle_f32_e32 vcc, s43, v67
	v_cndmask_b32_e64 v67, v53, v67, s[6:7]
	v_cvt_i32_f32_e32 v67, v67
	v_cvt_i32_f32_e32 v66, v66
	;; [unrolled: 1-line block ×3, first 2 shown]
	v_lshlrev_b16_e32 v8, 8, v8
	v_cndmask_b32_e32 v67, v54, v67, vcc
	v_cndmask_b32_e64 v66, v54, v66, s[0:1]
	v_cndmask_b32_e64 v65, v54, v65, s[2:3]
	v_add_u32_e32 v67, s40, v67
	v_add_u32_e32 v66, s29, v66
	;; [unrolled: 1-line block ×3, first 2 shown]
	v_or_b32_sdwa v8, v70, v8 dst_sel:DWORD dst_unused:UNUSED_PAD src0_sel:BYTE_0 src1_sel:DWORD
	v_med3_i32 v70, v65, s45, v55
	v_med3_i32 v65, v66, s45, v55
	;; [unrolled: 1-line block ×3, first 2 shown]
	v_lshlrev_b16_e32 v66, 8, v66
	v_or_b32_sdwa v65, v65, v66 dst_sel:DWORD dst_unused:UNUSED_PAD src0_sel:BYTE_0 src1_sel:DWORD
	v_cvt_f32_f16_sdwa v67, v21 dst_sel:DWORD dst_unused:UNUSED_PAD src0_sel:WORD_1
	v_cvt_f32_f16_sdwa v66, v17 dst_sel:DWORD dst_unused:UNUSED_PAD src0_sel:WORD_1
	;; [unrolled: 1-line block ×4, first 2 shown]
	v_cvt_i32_f32_e32 v20, v20
	v_pk_mul_f32 v[66:67], v[40:41], v[66:67]
	v_rndne_f32_e32 v9, v66
	v_pk_mul_f32 v[68:69], v[38:39], v[68:69]
	v_rndne_f32_e32 v13, v68
	v_cmp_nge_f32_e64 s[6:7], s44, v9
	v_cndmask_b32_e64 v20, v54, v20, s[4:5]
	v_rndne_f32_e32 v17, v69
	v_cmp_nle_f32_e64 s[4:5], s43, v9
	v_cndmask_b32_e64 v9, v53, v9, s[6:7]
	v_cmp_nge_f32_e64 s[6:7], s44, v13
	v_rndne_f32_e32 v21, v67
	v_cmp_nle_f32_e64 s[2:3], s43, v13
	v_cndmask_b32_e64 v13, v53, v13, s[6:7]
	v_cmp_nge_f32_e64 s[6:7], s44, v17
	v_cmp_nle_f32_e64 s[0:1], s43, v17
	v_cndmask_b32_e64 v17, v53, v17, s[6:7]
	v_cmp_nge_f32_e64 s[6:7], s44, v21
	v_cmp_nle_f32_e32 vcc, s43, v21
	v_cndmask_b32_e64 v21, v53, v21, s[6:7]
	v_cvt_i32_f32_e32 v21, v21
	v_cvt_i32_f32_e32 v17, v17
	v_cvt_i32_f32_e32 v13, v13
	v_lshlrev_b64 v[66:67], 4, v[42:43]
	v_cndmask_b32_e32 v21, v54, v21, vcc
	v_cndmask_b32_e64 v17, v54, v17, s[0:1]
	v_add_co_u32_e32 v66, vcc, s36, v66
	v_cndmask_b32_e64 v13, v54, v13, s[2:3]
	v_add_u32_e32 v17, s40, v17
	v_addc_co_u32_e32 v67, vcc, v56, v67, vcc
	v_add_u32_e32 v13, s29, v13
	v_med3_i32 v17, v17, s45, v55
	v_add_co_u32_e32 v44, vcc, s36, v44
	v_add_u32_e32 v1, s41, v1
	v_and_b32_e32 v58, 0xffff, v58
	v_med3_i32 v13, v13, s45, v55
	v_lshlrev_b16_e32 v17, 8, v17
	v_addc_co_u32_e32 v45, vcc, v56, v45, vcc
	v_med3_i32 v1, v1, s45, v55
	v_and_b32_e32 v30, 0xffff, v30
	v_or_b32_sdwa v13, v13, v17 dst_sel:DWORD dst_unused:UNUSED_PAD src0_sel:BYTE_0 src1_sel:DWORD
	v_add_co_u32_e32 v46, vcc, s36, v46
	v_lshrrev_b32_e32 v17, 8, v58
	v_and_b32_e32 v59, 0xffff, v59
	v_addc_co_u32_e32 v47, vcc, v56, v47, vcc
	global_store_byte v[66:67], v58, off
	global_store_byte v[44:45], v17, off
	;; [unrolled: 1-line block ×3, first 2 shown]
	global_store_byte v[66:67], v30, off offset:1
	v_lshrrev_b32_e32 v1, 8, v30
	v_add_u32_e32 v34, s41, v34
	v_and_b32_e32 v31, 0xffff, v31
	global_store_byte v[44:45], v1, off offset:1
	global_store_byte v[46:47], v26, off offset:1
	global_store_byte v[66:67], v59, off offset:2
	v_lshrrev_b32_e32 v1, 8, v59
	v_med3_i32 v34, v34, s45, v55
	v_and_b32_e32 v60, 0xffff, v60
	global_store_byte v[44:45], v1, off offset:2
	global_store_byte v[46:47], v34, off offset:2
	global_store_byte v[66:67], v31, off offset:3
	v_lshrrev_b32_e32 v1, 8, v31
	v_add_u32_e32 v35, s41, v35
	v_and_b32_e32 v32, 0xffff, v32
	global_store_byte v[44:45], v1, off offset:3
	global_store_byte v[46:47], v27, off offset:3
	global_store_byte v[66:67], v60, off offset:4
	v_lshrrev_b32_e32 v1, 8, v60
	v_med3_i32 v35, v35, s45, v55
	v_and_b32_e32 v61, 0xffff, v61
	global_store_byte v[44:45], v1, off offset:4
	global_store_byte v[46:47], v35, off offset:4
	global_store_byte v[66:67], v32, off offset:5
	v_lshrrev_b32_e32 v1, 8, v32
	v_add_u32_e32 v36, s41, v36
	v_and_b32_e32 v33, 0xffff, v33
	global_store_byte v[44:45], v1, off offset:5
	global_store_byte v[46:47], v28, off offset:5
	global_store_byte v[66:67], v61, off offset:6
	v_lshrrev_b32_e32 v1, 8, v61
	v_med3_i32 v36, v36, s45, v55
	v_and_b32_e32 v62, 0xffff, v62
	global_store_byte v[44:45], v1, off offset:6
	global_store_byte v[46:47], v36, off offset:6
	global_store_byte v[66:67], v33, off offset:7
	v_lshrrev_b32_e32 v1, 8, v33
	v_add_u32_e32 v37, s41, v37
	v_and_b32_e32 v14, 0xffff, v14
	global_store_byte v[44:45], v1, off offset:7
	global_store_byte v[46:47], v29, off offset:7
	;; [unrolled: 1-line block ×3, first 2 shown]
	v_lshrrev_b32_e32 v1, 8, v62
	v_med3_i32 v37, v37, s45, v55
	v_and_b32_e32 v63, 0xffff, v63
	v_cvt_i32_f32_e32 v9, v9
	global_store_byte v[44:45], v1, off offset:8
	global_store_byte v[46:47], v37, off offset:8
	;; [unrolled: 1-line block ×3, first 2 shown]
	v_lshrrev_b32_e32 v1, 8, v14
	v_add_u32_e32 v18, s41, v18
	v_and_b32_e32 v15, 0xffff, v15
	global_store_byte v[44:45], v1, off offset:9
	global_store_byte v[46:47], v10, off offset:9
	;; [unrolled: 1-line block ×3, first 2 shown]
	v_lshrrev_b32_e32 v1, 8, v63
	v_med3_i32 v18, v18, s45, v55
	v_and_b32_e32 v64, 0xffff, v64
	global_store_byte v[44:45], v1, off offset:10
	global_store_byte v[46:47], v18, off offset:10
	;; [unrolled: 1-line block ×3, first 2 shown]
	v_lshrrev_b32_e32 v1, 8, v15
	v_add_u32_e32 v19, s41, v19
	v_and_b32_e32 v16, 0xffff, v16
	v_add_u32_e32 v21, s42, v21
	global_store_byte v[44:45], v1, off offset:11
	global_store_byte v[46:47], v11, off offset:11
	;; [unrolled: 1-line block ×3, first 2 shown]
	v_lshrrev_b32_e32 v1, 8, v64
	v_med3_i32 v19, v19, s45, v55
	v_and_b32_e32 v65, 0xffff, v65
	v_cndmask_b32_e64 v9, v54, v9, s[4:5]
	v_med3_i32 v21, v21, s45, v55
	v_add_co_u32_e32 v48, vcc, s36, v48
	global_store_byte v[44:45], v1, off offset:12
	global_store_byte v[46:47], v19, off offset:12
	;; [unrolled: 1-line block ×3, first 2 shown]
	v_lshrrev_b32_e32 v1, 8, v16
	v_add_u32_e32 v20, s41, v20
	v_add_u32_e32 v9, s41, v9
	v_lshlrev_b16_e32 v21, 8, v21
	v_and_b32_e32 v13, 0xffff, v13
	v_addc_co_u32_e32 v49, vcc, v56, v49, vcc
	global_store_byte v[44:45], v1, off offset:13
	global_store_byte v[46:47], v12, off offset:13
	;; [unrolled: 1-line block ×3, first 2 shown]
	v_lshrrev_b32_e32 v1, 8, v65
	v_med3_i32 v20, v20, s45, v55
	v_med3_i32 v9, v9, s45, v55
	v_or_b32_sdwa v21, v70, v21 dst_sel:WORD_1 dst_unused:UNUSED_PAD src0_sel:BYTE_0 src1_sel:DWORD
	global_store_byte v[44:45], v1, off offset:14
	global_store_byte v[46:47], v20, off offset:14
	global_store_byte v[66:67], v13, off offset:15
	v_lshrrev_b32_e32 v1, 8, v13
	v_cmp_eq_u32_e32 vcc, 0, v57
	global_store_byte v[44:45], v1, off offset:15
	global_store_byte v[46:47], v9, off offset:15
	v_or_b32_sdwa v9, v8, v21 dst_sel:DWORD dst_unused:UNUSED_PAD src0_sel:WORD_0 src1_sel:DWORD
	v_or_b32_sdwa v8, v6, v7 dst_sel:DWORD dst_unused:UNUSED_PAD src0_sel:WORD_0 src1_sel:DWORD
	;; [unrolled: 1-line block ×4, first 2 shown]
	s_or_b64 s[26:27], vcc, s[26:27]
	global_store_dwordx4 v[48:49], v[6:9], off
	s_andn2_b64 exec, exec, s[26:27]
	s_cbranch_execnz .LBB3_16
; %bb.17:
	s_or_b64 exec, exec, s[26:27]
	v_cmp_ne_u32_e32 vcc, v50, v51
	v_add_u32_e32 v10, v0, v51
	s_orn2_b64 s[0:1], vcc, exec
.LBB3_18:
	s_or_b64 exec, exec, s[24:25]
	s_and_b64 exec, exec, s[0:1]
	s_cbranch_execz .LBB3_85
; %bb.19:
	s_add_u32 s0, s18, s14
	s_addc_u32 s1, s19, s15
	v_mov_b32_e32 v11, 0
	s_add_u32 s0, s10, s0
	v_lshlrev_b64 v[2:3], 4, v[10:11]
	s_addc_u32 s1, s11, s1
	s_lshl_b32 s7, s28, 4
	v_add_co_u32_e32 v12, vcc, s0, v2
	s_add_u32 s0, s8, s20
	v_mov_b32_e32 v1, s1
	s_addc_u32 s1, s9, s21
	s_add_u32 s0, s0, s12
	v_addc_co_u32_e32 v13, vcc, v1, v3, vcc
	v_lshlrev_b64 v[2:3], 5, v[10:11]
	s_addc_u32 s1, s1, s13
	s_mov_b32 s6, 0
	v_mov_b32_e32 v1, s1
	v_add_co_u32_e32 v14, vcc, s0, v2
	v_addc_co_u32_e32 v15, vcc, v1, v3, vcc
	s_lshl_b32 s24, s28, 5
	s_mov_b32 s25, s6
	s_mov_b64 s[0:1], 0
	s_mov_b32 s26, 0x4f000000
	s_mov_b32 s27, 0xcf000000
	s_movk_i32 s40, 0xff80
	v_mov_b32_e32 v1, 0x7f
	s_branch .LBB3_22
.LBB3_20:                               ;   in Loop: Header=BB3_22 Depth=1
	s_or_b64 exec, exec, s[4:5]
.LBB3_21:                               ;   in Loop: Header=BB3_22 Depth=1
	s_or_b64 exec, exec, s[2:3]
	v_add_u32_e32 v3, s29, v3
	v_add_u32_e32 v4, s29, v4
	;; [unrolled: 1-line block ×3, first 2 shown]
	v_med3_i32 v3, v3, s40, v1
	v_add_u32_e32 v22, s29, v22
	v_med3_i32 v4, v4, s40, v1
	v_med3_i32 v5, v5, s40, v1
	;; [unrolled: 1-line block ×3, first 2 shown]
	v_add_u32_e32 v2, s29, v2
	v_add_u32_e32 v9, s29, v9
	v_lshlrev_b16_e32 v3, 8, v3
	v_lshlrev_b16_e32 v4, 8, v4
	v_med3_i32 v2, v2, s40, v1
	v_add_u32_e32 v21, s29, v21
	v_med3_i32 v9, v9, s40, v1
	v_add_u32_e32 v20, s29, v20
	v_or_b32_sdwa v3, v22, v3 dst_sel:DWORD dst_unused:UNUSED_PAD src0_sel:BYTE_0 src1_sel:DWORD
	v_or_b32_sdwa v4, v5, v4 dst_sel:WORD_1 dst_unused:UNUSED_PAD src0_sel:BYTE_0 src1_sel:DWORD
	v_med3_i32 v21, v21, s40, v1
	v_med3_i32 v20, v20, s40, v1
	v_add_u32_e32 v8, s29, v8
	v_add_u32_e32 v7, s29, v7
	v_or_b32_sdwa v5, v3, v4 dst_sel:DWORD dst_unused:UNUSED_PAD src0_sel:WORD_0 src1_sel:DWORD
	v_lshlrev_b16_e32 v3, 8, v9
	v_lshlrev_b16_e32 v2, 8, v2
	v_med3_i32 v8, v8, s40, v1
	v_add_u32_e32 v19, s29, v19
	v_med3_i32 v7, v7, s40, v1
	v_add_u32_e32 v18, s29, v18
	v_or_b32_sdwa v3, v20, v3 dst_sel:DWORD dst_unused:UNUSED_PAD src0_sel:BYTE_0 src1_sel:DWORD
	v_or_b32_sdwa v2, v21, v2 dst_sel:WORD_1 dst_unused:UNUSED_PAD src0_sel:BYTE_0 src1_sel:DWORD
	v_med3_i32 v19, v19, s40, v1
	v_med3_i32 v18, v18, s40, v1
	v_add_u32_e32 v6, s29, v6
	v_add_u32_e32 v11, s29, v11
	v_or_b32_sdwa v4, v3, v2 dst_sel:DWORD dst_unused:UNUSED_PAD src0_sel:WORD_0 src1_sel:DWORD
	v_lshlrev_b16_e32 v2, 8, v7
	v_lshlrev_b16_e32 v3, 8, v8
	v_med3_i32 v6, v6, s40, v1
	v_add_u32_e32 v17, s29, v17
	v_med3_i32 v11, v11, s40, v1
	v_add_u32_e32 v16, s29, v16
	v_or_b32_sdwa v2, v18, v2 dst_sel:DWORD dst_unused:UNUSED_PAD src0_sel:BYTE_0 src1_sel:DWORD
	v_or_b32_sdwa v3, v19, v3 dst_sel:WORD_1 dst_unused:UNUSED_PAD src0_sel:BYTE_0 src1_sel:DWORD
	v_med3_i32 v17, v17, s40, v1
	v_med3_i32 v16, v16, s40, v1
	v_or_b32_sdwa v3, v2, v3 dst_sel:DWORD dst_unused:UNUSED_PAD src0_sel:WORD_0 src1_sel:DWORD
	v_lshlrev_b16_e32 v2, 8, v11
	v_lshlrev_b16_e32 v6, 8, v6
	v_or_b32_sdwa v2, v16, v2 dst_sel:DWORD dst_unused:UNUSED_PAD src0_sel:BYTE_0 src1_sel:DWORD
	v_or_b32_sdwa v6, v17, v6 dst_sel:WORD_1 dst_unused:UNUSED_PAD src0_sel:BYTE_0 src1_sel:DWORD
	v_or_b32_sdwa v2, v2, v6 dst_sel:DWORD dst_unused:UNUSED_PAD src0_sel:WORD_0 src1_sel:DWORD
	global_store_dwordx4 v[12:13], v[2:5], off
	v_add_co_u32_e32 v12, vcc, s7, v12
	v_mov_b32_e32 v2, s6
	v_add_u32_e32 v10, s28, v10
	v_addc_co_u32_e32 v13, vcc, v13, v2, vcc
	v_cmp_le_i32_e32 vcc, s39, v10
	v_mov_b32_e32 v2, s25
	s_or_b64 s[0:1], vcc, s[0:1]
	v_add_co_u32_e32 v14, vcc, s24, v14
	v_addc_co_u32_e32 v15, vcc, v15, v2, vcc
	s_andn2_b64 exec, exec, s[0:1]
	s_cbranch_execz .LBB3_85
.LBB3_22:                               ; =>This Inner Loop Header: Depth=1
	global_load_dwordx4 v[6:9], v[14:15], off
	global_load_dwordx4 v[2:5], v[14:15], off offset:16
	v_bfrev_b32_e32 v11, -2
	s_waitcnt vmcnt(1)
	v_cvt_f32_f16_e32 v16, v6
	v_mul_f32_e32 v16, v38, v16
	v_rndne_f32_e32 v17, v16
	v_cmp_nle_f32_e32 vcc, s26, v17
	v_bfrev_b32_e32 v16, -2
	s_and_saveexec_b64 s[2:3], vcc
	s_cbranch_execz .LBB3_26
; %bb.23:                               ;   in Loop: Header=BB3_22 Depth=1
	v_cmp_nge_f32_e32 vcc, s27, v17
	v_bfrev_b32_e32 v16, 1
	s_and_saveexec_b64 s[4:5], vcc
; %bb.24:                               ;   in Loop: Header=BB3_22 Depth=1
	v_cvt_i32_f32_e32 v16, v17
; %bb.25:                               ;   in Loop: Header=BB3_22 Depth=1
	s_or_b64 exec, exec, s[4:5]
.LBB3_26:                               ;   in Loop: Header=BB3_22 Depth=1
	s_or_b64 exec, exec, s[2:3]
	v_cvt_f32_f16_sdwa v6, v6 dst_sel:DWORD dst_unused:UNUSED_PAD src0_sel:WORD_1
	v_mul_f32_e32 v6, v38, v6
	v_rndne_f32_e32 v6, v6
	v_cmp_nle_f32_e32 vcc, s26, v6
	s_and_saveexec_b64 s[2:3], vcc
	s_cbranch_execz .LBB3_30
; %bb.27:                               ;   in Loop: Header=BB3_22 Depth=1
	v_cmp_nge_f32_e32 vcc, s27, v6
	v_bfrev_b32_e32 v11, 1
	s_and_saveexec_b64 s[4:5], vcc
; %bb.28:                               ;   in Loop: Header=BB3_22 Depth=1
	v_cvt_i32_f32_e32 v11, v6
; %bb.29:                               ;   in Loop: Header=BB3_22 Depth=1
	s_or_b64 exec, exec, s[4:5]
.LBB3_30:                               ;   in Loop: Header=BB3_22 Depth=1
	s_or_b64 exec, exec, s[2:3]
	v_cvt_f32_f16_e32 v17, v7
	v_bfrev_b32_e32 v6, -2
	v_mul_f32_e32 v17, v38, v17
	v_rndne_f32_e32 v18, v17
	v_cmp_nle_f32_e32 vcc, s26, v18
	v_bfrev_b32_e32 v17, -2
	s_and_saveexec_b64 s[2:3], vcc
	s_cbranch_execz .LBB3_34
; %bb.31:                               ;   in Loop: Header=BB3_22 Depth=1
	v_cmp_nge_f32_e32 vcc, s27, v18
	v_bfrev_b32_e32 v17, 1
	s_and_saveexec_b64 s[4:5], vcc
; %bb.32:                               ;   in Loop: Header=BB3_22 Depth=1
	v_cvt_i32_f32_e32 v17, v18
; %bb.33:                               ;   in Loop: Header=BB3_22 Depth=1
	s_or_b64 exec, exec, s[4:5]
.LBB3_34:                               ;   in Loop: Header=BB3_22 Depth=1
	s_or_b64 exec, exec, s[2:3]
	v_cvt_f32_f16_sdwa v7, v7 dst_sel:DWORD dst_unused:UNUSED_PAD src0_sel:WORD_1
	v_mul_f32_e32 v7, v38, v7
	v_rndne_f32_e32 v7, v7
	v_cmp_nle_f32_e32 vcc, s26, v7
	s_and_saveexec_b64 s[2:3], vcc
	s_cbranch_execz .LBB3_38
; %bb.35:                               ;   in Loop: Header=BB3_22 Depth=1
	v_cmp_nge_f32_e32 vcc, s27, v7
	v_bfrev_b32_e32 v6, 1
	s_and_saveexec_b64 s[4:5], vcc
; %bb.36:                               ;   in Loop: Header=BB3_22 Depth=1
	v_cvt_i32_f32_e32 v6, v7
; %bb.37:                               ;   in Loop: Header=BB3_22 Depth=1
	s_or_b64 exec, exec, s[4:5]
.LBB3_38:                               ;   in Loop: Header=BB3_22 Depth=1
	s_or_b64 exec, exec, s[2:3]
	v_cvt_f32_f16_e32 v18, v8
	v_bfrev_b32_e32 v7, -2
	;; [unrolled: 34-line block ×3, first 2 shown]
	v_mul_f32_e32 v19, v38, v19
	v_rndne_f32_e32 v20, v19
	v_cmp_nle_f32_e32 vcc, s26, v20
	v_bfrev_b32_e32 v19, -2
	s_and_saveexec_b64 s[2:3], vcc
	s_cbranch_execz .LBB3_50
; %bb.47:                               ;   in Loop: Header=BB3_22 Depth=1
	v_cmp_nge_f32_e32 vcc, s27, v20
	v_bfrev_b32_e32 v19, 1
	s_and_saveexec_b64 s[4:5], vcc
; %bb.48:                               ;   in Loop: Header=BB3_22 Depth=1
	v_cvt_i32_f32_e32 v19, v20
; %bb.49:                               ;   in Loop: Header=BB3_22 Depth=1
	s_or_b64 exec, exec, s[4:5]
.LBB3_50:                               ;   in Loop: Header=BB3_22 Depth=1
	s_or_b64 exec, exec, s[2:3]
	v_cvt_f32_f16_sdwa v9, v9 dst_sel:DWORD dst_unused:UNUSED_PAD src0_sel:WORD_1
	v_mul_f32_e32 v9, v38, v9
	v_rndne_f32_e32 v9, v9
	v_cmp_nle_f32_e32 vcc, s26, v9
	s_and_saveexec_b64 s[2:3], vcc
	s_cbranch_execz .LBB3_54
; %bb.51:                               ;   in Loop: Header=BB3_22 Depth=1
	v_cmp_nge_f32_e32 vcc, s27, v9
	v_bfrev_b32_e32 v8, 1
	s_and_saveexec_b64 s[4:5], vcc
; %bb.52:                               ;   in Loop: Header=BB3_22 Depth=1
	v_cvt_i32_f32_e32 v8, v9
; %bb.53:                               ;   in Loop: Header=BB3_22 Depth=1
	s_or_b64 exec, exec, s[4:5]
.LBB3_54:                               ;   in Loop: Header=BB3_22 Depth=1
	s_or_b64 exec, exec, s[2:3]
	s_waitcnt vmcnt(0)
	v_cvt_f32_f16_e32 v20, v2
	v_bfrev_b32_e32 v9, -2
	v_mul_f32_e32 v20, v38, v20
	v_rndne_f32_e32 v21, v20
	v_cmp_nle_f32_e32 vcc, s26, v21
	v_bfrev_b32_e32 v20, -2
	s_and_saveexec_b64 s[2:3], vcc
	s_cbranch_execz .LBB3_58
; %bb.55:                               ;   in Loop: Header=BB3_22 Depth=1
	v_cmp_nge_f32_e32 vcc, s27, v21
	v_bfrev_b32_e32 v20, 1
	s_and_saveexec_b64 s[4:5], vcc
; %bb.56:                               ;   in Loop: Header=BB3_22 Depth=1
	v_cvt_i32_f32_e32 v20, v21
; %bb.57:                               ;   in Loop: Header=BB3_22 Depth=1
	s_or_b64 exec, exec, s[4:5]
.LBB3_58:                               ;   in Loop: Header=BB3_22 Depth=1
	s_or_b64 exec, exec, s[2:3]
	v_cvt_f32_f16_sdwa v2, v2 dst_sel:DWORD dst_unused:UNUSED_PAD src0_sel:WORD_1
	v_mul_f32_e32 v2, v38, v2
	v_rndne_f32_e32 v2, v2
	v_cmp_nle_f32_e32 vcc, s26, v2
	s_and_saveexec_b64 s[2:3], vcc
	s_cbranch_execz .LBB3_62
; %bb.59:                               ;   in Loop: Header=BB3_22 Depth=1
	v_cmp_nge_f32_e32 vcc, s27, v2
	v_bfrev_b32_e32 v9, 1
	s_and_saveexec_b64 s[4:5], vcc
; %bb.60:                               ;   in Loop: Header=BB3_22 Depth=1
	v_cvt_i32_f32_e32 v9, v2
; %bb.61:                               ;   in Loop: Header=BB3_22 Depth=1
	s_or_b64 exec, exec, s[4:5]
.LBB3_62:                               ;   in Loop: Header=BB3_22 Depth=1
	s_or_b64 exec, exec, s[2:3]
	v_cvt_f32_f16_e32 v21, v3
	v_bfrev_b32_e32 v2, -2
	v_mul_f32_e32 v21, v38, v21
	v_rndne_f32_e32 v22, v21
	v_cmp_nle_f32_e32 vcc, s26, v22
	v_bfrev_b32_e32 v21, -2
	s_and_saveexec_b64 s[2:3], vcc
	s_cbranch_execz .LBB3_66
; %bb.63:                               ;   in Loop: Header=BB3_22 Depth=1
	v_cmp_nge_f32_e32 vcc, s27, v22
	v_bfrev_b32_e32 v21, 1
	s_and_saveexec_b64 s[4:5], vcc
; %bb.64:                               ;   in Loop: Header=BB3_22 Depth=1
	v_cvt_i32_f32_e32 v21, v22
; %bb.65:                               ;   in Loop: Header=BB3_22 Depth=1
	s_or_b64 exec, exec, s[4:5]
.LBB3_66:                               ;   in Loop: Header=BB3_22 Depth=1
	s_or_b64 exec, exec, s[2:3]
	v_cvt_f32_f16_sdwa v3, v3 dst_sel:DWORD dst_unused:UNUSED_PAD src0_sel:WORD_1
	v_mul_f32_e32 v3, v38, v3
	v_rndne_f32_e32 v3, v3
	v_cmp_nle_f32_e32 vcc, s26, v3
	s_and_saveexec_b64 s[2:3], vcc
	s_cbranch_execz .LBB3_70
; %bb.67:                               ;   in Loop: Header=BB3_22 Depth=1
	v_cmp_nge_f32_e32 vcc, s27, v3
	v_bfrev_b32_e32 v2, 1
	s_and_saveexec_b64 s[4:5], vcc
; %bb.68:                               ;   in Loop: Header=BB3_22 Depth=1
	v_cvt_i32_f32_e32 v2, v3
; %bb.69:                               ;   in Loop: Header=BB3_22 Depth=1
	s_or_b64 exec, exec, s[4:5]
.LBB3_70:                               ;   in Loop: Header=BB3_22 Depth=1
	s_or_b64 exec, exec, s[2:3]
	;; [unrolled: 34-line block ×3, first 2 shown]
	v_cvt_f32_f16_e32 v23, v5
	v_bfrev_b32_e32 v4, -2
	v_mul_f32_e32 v23, v38, v23
	v_rndne_f32_e32 v24, v23
	v_cmp_nle_f32_e32 vcc, s26, v24
	v_bfrev_b32_e32 v23, -2
	s_and_saveexec_b64 s[2:3], vcc
	s_cbranch_execz .LBB3_82
; %bb.79:                               ;   in Loop: Header=BB3_22 Depth=1
	v_cmp_nge_f32_e32 vcc, s27, v24
	v_bfrev_b32_e32 v23, 1
	s_and_saveexec_b64 s[4:5], vcc
; %bb.80:                               ;   in Loop: Header=BB3_22 Depth=1
	v_cvt_i32_f32_e32 v23, v24
; %bb.81:                               ;   in Loop: Header=BB3_22 Depth=1
	s_or_b64 exec, exec, s[4:5]
.LBB3_82:                               ;   in Loop: Header=BB3_22 Depth=1
	s_or_b64 exec, exec, s[2:3]
	v_cvt_f32_f16_sdwa v5, v5 dst_sel:DWORD dst_unused:UNUSED_PAD src0_sel:WORD_1
	v_mul_f32_e32 v5, v38, v5
	v_rndne_f32_e32 v5, v5
	v_cmp_nle_f32_e32 vcc, s26, v5
	s_and_saveexec_b64 s[2:3], vcc
	s_cbranch_execz .LBB3_21
; %bb.83:                               ;   in Loop: Header=BB3_22 Depth=1
	v_cmp_nge_f32_e32 vcc, s27, v5
	v_bfrev_b32_e32 v4, 1
	s_and_saveexec_b64 s[4:5], vcc
	s_cbranch_execz .LBB3_20
; %bb.84:                               ;   in Loop: Header=BB3_22 Depth=1
	v_cvt_i32_f32_e32 v4, v5
	s_branch .LBB3_20
.LBB3_85:
	s_or_b64 exec, exec, s[22:23]
	v_lshl_add_u32 v2, s39, 4, v0
	v_cmp_gt_i32_e32 vcc, s34, v2
	s_and_saveexec_b64 s[2:3], vcc
	s_cbranch_execz .LBB3_97
; %bb.86:
	v_cvt_f32_u32_e32 v1, s28
	v_add_u32_e32 v3, s28, v2
	v_mov_b32_e32 v4, s28
	s_sub_i32 s4, 0, s28
	v_rcp_iflag_f32_e32 v1, v1
	v_cmp_gt_i32_e32 vcc, s34, v3
	v_max_i32_e32 v5, s34, v3
	v_addc_co_u32_e64 v3, s[0:1], v2, v4, vcc
	v_mul_f32_e32 v1, 0x4f7ffffe, v1
	v_cvt_u32_f32_e32 v1, v1
	v_sub_u32_e32 v3, v5, v3
	s_cmp_eq_u32 s28, 1
	v_mul_lo_u32 v4, s4, v1
	v_mul_hi_u32 v4, v1, v4
	v_add_u32_e32 v1, v1, v4
	v_mul_hi_u32 v1, v3, v1
	v_mul_lo_u32 v4, v1, s28
	v_sub_u32_e32 v3, v3, v4
	v_add_u32_e32 v5, 1, v1
	v_cmp_le_u32_e64 s[0:1], s28, v3
	v_subrev_u32_e32 v4, s28, v3
	v_cndmask_b32_e64 v1, v1, v5, s[0:1]
	v_cndmask_b32_e64 v3, v3, v4, s[0:1]
	v_add_u32_e32 v4, 1, v1
	v_cmp_le_u32_e64 s[0:1], s28, v3
	v_cndmask_b32_e64 v1, v1, v4, s[0:1]
	v_addc_co_u32_e32 v1, vcc, 1, v1, vcc
	v_cmp_lt_u32_e32 vcc, 3, v1
	s_cselect_b64 s[0:1], -1, 0
	s_and_b64 s[6:7], vcc, s[0:1]
	s_mov_b64 s[4:5], -1
	s_and_saveexec_b64 s[0:1], s[6:7]
	s_cbranch_execz .LBB3_90
; %bb.87:
	v_and_b32_e32 v3, -4, v1
	v_mov_b32_e32 v39, v38
	s_mov_b32 s6, s29
	s_mov_b32 s7, s29
	;; [unrolled: 1-line block ×3, first 2 shown]
	s_mov_b64 s[4:5], 0
	v_mov_b32_e32 v8, s38
	v_mov_b32_e32 v9, s37
	;; [unrolled: 1-line block ×4, first 2 shown]
	s_mov_b32 s23, 0x4f000000
	s_mov_b32 s24, 0xcf000000
	v_mov_b32_e32 v10, 0xcf000000
	v_bfrev_b32_e32 v11, -2
	s_movk_i32 s25, 0xff80
	v_mov_b32_e32 v12, 0x7f
	v_mov_b32_e32 v6, v2
	;; [unrolled: 1-line block ×3, first 2 shown]
.LBB3_88:                               ; =>This Inner Loop Header: Depth=1
	v_ashrrev_i32_e32 v7, 31, v6
	v_lshlrev_b64 v[14:15], 1, v[6:7]
	v_add_co_u32_e32 v14, vcc, s35, v14
	v_addc_co_u32_e32 v15, vcc, v9, v15, vcc
	global_load_dwordx2 v[14:15], v[14:15], off
	v_add_co_u32_e32 v16, vcc, s36, v6
	v_add_u32_e32 v13, -4, v13
	v_addc_co_u32_e32 v17, vcc, v8, v7, vcc
	v_cmp_eq_u32_e32 vcc, 0, v13
	s_or_b64 s[4:5], vcc, s[4:5]
	v_add_u32_e32 v6, 4, v6
	s_waitcnt vmcnt(0)
	v_cvt_f32_f16_e32 v18, v15
	v_cvt_f32_f16_sdwa v19, v15 dst_sel:DWORD dst_unused:UNUSED_PAD src0_sel:WORD_1
	v_cvt_f32_f16_e32 v20, v14
	v_cvt_f32_f16_sdwa v21, v14 dst_sel:DWORD dst_unused:UNUSED_PAD src0_sel:WORD_1
	v_pk_mul_f32 v[18:19], v[4:5], v[18:19]
	v_rndne_f32_e32 v7, v18
	v_pk_mul_f32 v[14:15], v[38:39], v[20:21]
	v_rndne_f32_e32 v18, v19
	v_cmp_nge_f32_e32 vcc, s24, v7
	v_rndne_f32_e32 v14, v14
	v_cndmask_b32_e32 v19, v10, v7, vcc
	v_cmp_nge_f32_e32 vcc, s24, v18
	v_rndne_f32_e32 v15, v15
	v_cndmask_b32_e32 v20, v10, v18, vcc
	v_cmp_nge_f32_e32 vcc, s24, v14
	v_cvt_i32_f32_e32 v19, v19
	v_cndmask_b32_e32 v21, v10, v14, vcc
	v_cmp_nge_f32_e32 vcc, s24, v15
	v_cvt_i32_f32_e32 v20, v20
	v_cndmask_b32_e32 v22, v10, v15, vcc
	v_cvt_i32_f32_e32 v21, v21
	v_cvt_i32_f32_e32 v22, v22
	v_cmp_nle_f32_e32 vcc, s23, v7
	v_cndmask_b32_e32 v7, v11, v19, vcc
	v_cmp_nle_f32_e32 vcc, s23, v18
	v_cndmask_b32_e32 v18, v11, v20, vcc
	;; [unrolled: 2-line block ×4, first 2 shown]
	v_add_u32_e32 v15, s6, v15
	v_add_u32_e32 v18, s22, v18
	;; [unrolled: 1-line block ×4, first 2 shown]
	v_med3_i32 v18, v18, s25, v12
	v_med3_i32 v15, v15, s25, v12
	;; [unrolled: 1-line block ×4, first 2 shown]
	v_lshlrev_b16_e32 v15, 8, v15
	v_lshlrev_b16_e32 v18, 8, v18
	v_or_b32_sdwa v14, v14, v15 dst_sel:DWORD dst_unused:UNUSED_PAD src0_sel:BYTE_0 src1_sel:DWORD
	v_or_b32_sdwa v7, v7, v18 dst_sel:WORD_1 dst_unused:UNUSED_PAD src0_sel:BYTE_0 src1_sel:DWORD
	v_or_b32_sdwa v7, v14, v7 dst_sel:DWORD dst_unused:UNUSED_PAD src0_sel:WORD_0 src1_sel:DWORD
	global_store_dword v[16:17], v7, off
	s_andn2_b64 exec, exec, s[4:5]
	s_cbranch_execnz .LBB3_88
; %bb.89:
	s_or_b64 exec, exec, s[4:5]
	v_cmp_ne_u32_e32 vcc, v1, v3
	v_add_u32_e32 v2, v2, v3
	s_orn2_b64 s[4:5], vcc, exec
.LBB3_90:
	s_or_b64 exec, exec, s[0:1]
	s_and_b64 exec, exec, s[4:5]
	s_cbranch_execz .LBB3_97
; %bb.91:
	s_add_u32 s0, s12, s20
	s_addc_u32 s1, s13, s21
	v_ashrrev_i32_e32 v3, 31, v2
	s_add_u32 s0, s8, s0
	v_lshlrev_b64 v[4:5], 1, v[2:3]
	s_addc_u32 s1, s9, s1
	s_lshl_b32 s20, s28, 1
	v_add_co_u32_e32 v4, vcc, s0, v4
	s_add_u32 s0, s18, s14
	v_mov_b32_e32 v1, s1
	s_addc_u32 s1, s19, s15
	s_add_u32 s0, s10, s0
	v_addc_co_u32_e32 v5, vcc, v1, v5, vcc
	s_addc_u32 s1, s11, s1
	s_mov_b32 s4, 0
	v_mov_b32_e32 v6, s1
	v_add_co_u32_e32 v1, vcc, s0, v2
	v_addc_co_u32_e32 v3, vcc, v6, v3, vcc
	s_mov_b64 s[0:1], 0
	s_mov_b32 s21, 0x4f000000
	s_mov_b32 s22, 0xcf000000
	s_movk_i32 s23, 0xff80
	v_mov_b32_e32 v6, 0x7f
	v_mov_b32_e32 v7, s4
	s_mov_b64 s[4:5], 0
	s_branch .LBB3_94
.LBB3_92:                               ;   in Loop: Header=BB3_94 Depth=1
	s_or_b64 exec, exec, s[18:19]
.LBB3_93:                               ;   in Loop: Header=BB3_94 Depth=1
	s_or_b64 exec, exec, s[6:7]
	v_mov_b32_e32 v9, s5
	v_add_co_u32_e32 v10, vcc, s4, v1
	v_add_u32_e32 v8, s29, v8
	v_addc_co_u32_e32 v11, vcc, v3, v9, vcc
	v_med3_i32 v8, v8, s23, v6
	s_add_u32 s4, s4, s28
	global_store_byte v[10:11], v8, off
	v_add_u32_e32 v8, s4, v2
	s_addc_u32 s5, s5, 0
	v_cmp_le_i32_e32 vcc, s34, v8
	s_or_b64 s[0:1], vcc, s[0:1]
	v_add_co_u32_e32 v4, vcc, s20, v4
	v_addc_co_u32_e32 v5, vcc, v5, v7, vcc
	s_andn2_b64 exec, exec, s[0:1]
	s_cbranch_execz .LBB3_97
.LBB3_94:                               ; =>This Inner Loop Header: Depth=1
	global_load_ushort v8, v[4:5], off
	s_waitcnt vmcnt(0)
	v_cvt_f32_f16_e32 v8, v8
	v_mul_f32_e32 v8, v38, v8
	v_rndne_f32_e32 v9, v8
	v_cmp_nle_f32_e32 vcc, s21, v9
	v_bfrev_b32_e32 v8, -2
	s_and_saveexec_b64 s[6:7], vcc
	s_cbranch_execz .LBB3_93
; %bb.95:                               ;   in Loop: Header=BB3_94 Depth=1
	v_cmp_nge_f32_e32 vcc, s22, v9
	v_bfrev_b32_e32 v8, 1
	s_and_saveexec_b64 s[18:19], vcc
	s_cbranch_execz .LBB3_92
; %bb.96:                               ;   in Loop: Header=BB3_94 Depth=1
	v_cvt_i32_f32_e32 v8, v9
	s_branch .LBB3_92
.LBB3_97:
	s_or_b64 exec, exec, s[2:3]
	s_mov_b64 s[0:1], 0
.LBB3_98:
	s_and_b64 vcc, exec, s[0:1]
	s_cbranch_vccz .LBB3_171
; %bb.99:
	s_ashr_i32 s22, s33, 4
	v_cmp_gt_i32_e32 vcc, s22, v0
	s_and_saveexec_b64 s[0:1], vcc
	s_cbranch_execz .LBB3_171
; %bb.100:
	v_cvt_f32_u32_e32 v1, s28
	v_add_u32_e32 v2, s28, v0
	v_mov_b32_e32 v3, s28
	s_sub_i32 s2, 0, s28
	v_rcp_iflag_f32_e32 v1, v1
	v_cmp_gt_i32_e32 vcc, s22, v2
	v_max_i32_e32 v4, s22, v2
	v_addc_co_u32_e64 v2, s[0:1], v0, v3, vcc
	v_mul_f32_e32 v1, 0x4f7ffffe, v1
	v_cvt_u32_f32_e32 v1, v1
	v_sub_u32_e32 v2, v4, v2
	s_cmp_eq_u32 s28, 1
	v_mul_lo_u32 v3, s2, v1
	v_mul_hi_u32 v3, v1, v3
	v_add_u32_e32 v1, v1, v3
	v_mul_hi_u32 v1, v2, v1
	v_mul_lo_u32 v3, v1, s28
	v_sub_u32_e32 v2, v2, v3
	v_add_u32_e32 v4, 1, v1
	v_cmp_le_u32_e64 s[0:1], s28, v2
	v_subrev_u32_e32 v3, s28, v2
	v_cndmask_b32_e64 v1, v1, v4, s[0:1]
	v_cndmask_b32_e64 v2, v2, v3, s[0:1]
	v_add_u32_e32 v3, 1, v1
	v_cmp_le_u32_e64 s[0:1], s28, v2
	v_cndmask_b32_e64 v1, v1, v3, s[0:1]
	v_addc_co_u32_e32 v50, vcc, 1, v1, vcc
	v_cmp_lt_u32_e32 vcc, 3, v50
	s_cselect_b64 s[0:1], -1, 0
	s_and_b64 s[2:3], vcc, s[0:1]
	s_mov_b64 s[0:1], -1
	s_and_saveexec_b64 s[18:19], s[2:3]
	s_cbranch_execz .LBB3_104
; %bb.101:
	v_add_u32_e32 v3, 3, v0
	v_add_u32_e32 v2, 2, v0
	v_and_b32_e32 v51, -4, v50
	v_add_u32_e32 v1, 1, v0
	v_pk_mov_b32 v[4:5], v[2:3], v[2:3] op_sel:[0,1]
	v_mov_b32_e32 v39, v38
	s_mov_b32 s23, s29
	s_mov_b32 s24, s29
	;; [unrolled: 1-line block ×3, first 2 shown]
	s_mov_b64 s[20:21], 0
	v_mov_b32_e32 v52, s31
	v_mov_b32_e32 v40, v38
	;; [unrolled: 1-line block ×3, first 2 shown]
	s_mov_b32 s26, 0x4f000000
	s_mov_b32 s27, 0xcf000000
	v_mov_b32_e32 v53, 0xcf000000
	v_bfrev_b32_e32 v54, -2
	s_movk_i32 s31, 0xff80
	v_mov_b32_e32 v55, 0x7f
	v_mov_b32_e32 v56, s17
	;; [unrolled: 1-line block ×4, first 2 shown]
	v_pk_mov_b32 v[2:3], v[0:1], v[0:1] op_sel:[0,1]
.LBB3_102:                              ; =>This Inner Loop Header: Depth=1
	v_mov_b32_e32 v42, v2
	v_lshlrev_b64 v[6:7], 5, v[42:43]
	v_add_co_u32_e32 v18, vcc, s30, v6
	v_mov_b32_e32 v44, v3
	v_mov_b32_e32 v45, v43
	v_addc_co_u32_e32 v19, vcc, v52, v7, vcc
	v_lshlrev_b64 v[6:7], 5, v[44:45]
	v_add_co_u32_e32 v20, vcc, s30, v6
	v_mov_b32_e32 v46, v4
	v_mov_b32_e32 v47, v43
	v_addc_co_u32_e32 v21, vcc, v52, v7, vcc
	;; [unrolled: 5-line block ×3, first 2 shown]
	v_lshlrev_b64 v[6:7], 5, v[48:49]
	v_add_co_u32_e32 v60, vcc, s30, v6
	v_addc_co_u32_e32 v61, vcc, v52, v7, vcc
	global_load_dwordx4 v[22:25], v[18:19], off
	global_load_dwordx4 v[26:29], v[20:21], off
	;; [unrolled: 1-line block ×4, first 2 shown]
	global_load_dwordx4 v[6:9], v[18:19], off offset:16
	global_load_dwordx4 v[10:13], v[20:21], off offset:16
	;; [unrolled: 1-line block ×3, first 2 shown]
                                        ; kill: killed $vgpr20 killed $vgpr21
                                        ; kill: killed $vgpr18 killed $vgpr19
                                        ; kill: killed $vgpr58 killed $vgpr59
	s_nop 0
	global_load_dwordx4 v[18:21], v[60:61], off offset:16
	v_lshlrev_b64 v[44:45], 4, v[44:45]
	v_lshlrev_b64 v[46:47], 4, v[46:47]
	;; [unrolled: 1-line block ×3, first 2 shown]
	v_add_u32_e32 v57, -4, v57
	v_add_u32_e32 v5, 4, v5
	v_add_u32_e32 v4, 4, v4
	;; [unrolled: 1-line block ×4, first 2 shown]
	s_waitcnt vmcnt(7)
	v_cvt_f32_f16_e32 v60, v22
	s_waitcnt vmcnt(6)
	v_cvt_f32_f16_e32 v61, v26
	;; [unrolled: 2-line block ×4, first 2 shown]
	v_cvt_f32_f16_sdwa v63, v26 dst_sel:DWORD dst_unused:UNUSED_PAD src0_sel:WORD_1
	v_pk_mul_f32 v[60:61], v[38:39], v[60:61]
	v_cvt_f32_f16_sdwa v62, v22 dst_sel:DWORD dst_unused:UNUSED_PAD src0_sel:WORD_1
	v_pk_mul_f32 v[58:59], v[40:41], v[58:59]
	v_rndne_f32_e32 v1, v58
	v_rndne_f32_e32 v58, v59
	v_cmp_nge_f32_e64 s[6:7], s27, v1
	v_rndne_f32_e32 v59, v60
	v_cmp_nle_f32_e64 s[4:5], s26, v1
	v_cndmask_b32_e64 v1, v53, v1, s[6:7]
	v_cmp_nge_f32_e64 s[6:7], s27, v58
	v_rndne_f32_e32 v60, v61
	v_cmp_nle_f32_e64 s[2:3], s26, v58
	v_cndmask_b32_e64 v58, v53, v58, s[6:7]
	v_cmp_nge_f32_e64 s[6:7], s27, v59
	v_cmp_nle_f32_e64 s[0:1], s26, v59
	v_cndmask_b32_e64 v59, v53, v59, s[6:7]
	v_cmp_nge_f32_e64 s[6:7], s27, v60
	v_cmp_nle_f32_e32 vcc, s26, v60
	v_cndmask_b32_e64 v60, v53, v60, s[6:7]
	v_cvt_i32_f32_e32 v60, v60
	v_cvt_i32_f32_e32 v59, v59
	;; [unrolled: 1-line block ×3, first 2 shown]
	v_cvt_f32_f16_sdwa v61, v34 dst_sel:DWORD dst_unused:UNUSED_PAD src0_sel:WORD_1
	v_cndmask_b32_e32 v60, v54, v60, vcc
	v_cndmask_b32_e64 v59, v54, v59, s[0:1]
	v_cndmask_b32_e64 v58, v54, v58, s[2:3]
	v_add_u32_e32 v60, s23, v60
	v_add_u32_e32 v59, s29, v59
	;; [unrolled: 1-line block ×3, first 2 shown]
	v_med3_i32 v64, v58, s31, v55
	v_med3_i32 v58, v59, s31, v55
	;; [unrolled: 1-line block ×3, first 2 shown]
	v_cvt_f32_f16_sdwa v60, v30 dst_sel:DWORD dst_unused:UNUSED_PAD src0_sel:WORD_1
	v_cvt_i32_f32_e32 v1, v1
	v_pk_mul_f32 v[62:63], v[38:39], v[62:63]
	v_rndne_f32_e32 v26, v62
	v_pk_mul_f32 v[60:61], v[40:41], v[60:61]
	v_rndne_f32_e32 v22, v60
	v_cmp_nge_f32_e64 s[6:7], s27, v22
	v_cndmask_b32_e64 v1, v54, v1, s[4:5]
	v_rndne_f32_e32 v30, v63
	v_cmp_nle_f32_e64 s[4:5], s26, v22
	v_cndmask_b32_e64 v22, v53, v22, s[6:7]
	v_cmp_nge_f32_e64 s[6:7], s27, v26
	v_rndne_f32_e32 v34, v61
	v_cmp_nle_f32_e64 s[2:3], s26, v26
	v_cndmask_b32_e64 v26, v53, v26, s[6:7]
	v_cmp_nge_f32_e64 s[6:7], s27, v30
	v_cmp_nle_f32_e64 s[0:1], s26, v30
	v_cndmask_b32_e64 v30, v53, v30, s[6:7]
	v_cmp_nge_f32_e64 s[6:7], s27, v34
	v_cmp_nle_f32_e32 vcc, s26, v34
	v_cndmask_b32_e64 v34, v53, v34, s[6:7]
	v_cvt_i32_f32_e32 v30, v30
	v_cvt_i32_f32_e32 v34, v34
	;; [unrolled: 1-line block ×4, first 2 shown]
	v_cvt_f32_f16_e32 v61, v35
	v_cvt_f32_f16_e32 v60, v31
	v_cndmask_b32_e64 v30, v54, v30, s[0:1]
	v_cvt_f32_f16_e32 v63, v27
	v_cvt_f32_f16_e32 v62, v23
	v_lshlrev_b16_e32 v59, 8, v59
	v_cndmask_b32_e64 v22, v54, v22, s[4:5]
	v_cndmask_b32_e64 v26, v54, v26, s[2:3]
	v_cndmask_b32_e32 v34, v54, v34, vcc
	v_add_u32_e32 v30, s23, v30
	v_or_b32_sdwa v58, v58, v59 dst_sel:DWORD dst_unused:UNUSED_PAD src0_sel:BYTE_0 src1_sel:DWORD
	v_add_u32_e32 v34, s25, v34
	v_add_u32_e32 v59, s29, v26
	;; [unrolled: 1-line block ×3, first 2 shown]
	v_med3_i32 v30, v30, s31, v55
	v_pk_mul_f32 v[60:61], v[40:41], v[60:61]
	v_med3_i32 v26, v22, s31, v55
	v_med3_i32 v59, v59, s31, v55
	;; [unrolled: 1-line block ×3, first 2 shown]
	v_lshlrev_b16_e32 v30, 8, v30
	v_rndne_f32_e32 v34, v60
	v_or_b32_sdwa v30, v59, v30 dst_sel:DWORD dst_unused:UNUSED_PAD src0_sel:BYTE_0 src1_sel:DWORD
	v_pk_mul_f32 v[62:63], v[38:39], v[62:63]
	v_rndne_f32_e32 v59, v61
	v_cmp_nge_f32_e64 s[6:7], s27, v34
	v_rndne_f32_e32 v60, v62
	v_cmp_nle_f32_e64 s[4:5], s26, v34
	v_cndmask_b32_e64 v34, v53, v34, s[6:7]
	v_cmp_nge_f32_e64 s[6:7], s27, v59
	v_rndne_f32_e32 v61, v63
	v_cmp_nle_f32_e64 s[2:3], s26, v59
	v_cndmask_b32_e64 v59, v53, v59, s[6:7]
	v_cmp_nge_f32_e64 s[6:7], s27, v60
	v_cmp_nle_f32_e64 s[0:1], s26, v60
	v_cndmask_b32_e64 v60, v53, v60, s[6:7]
	v_cmp_nge_f32_e64 s[6:7], s27, v61
	v_cmp_nle_f32_e32 vcc, s26, v61
	v_cndmask_b32_e64 v61, v53, v61, s[6:7]
	v_cvt_i32_f32_e32 v61, v61
	v_cvt_i32_f32_e32 v60, v60
	;; [unrolled: 1-line block ×3, first 2 shown]
	v_lshlrev_b16_e32 v22, 8, v22
	v_cndmask_b32_e32 v61, v54, v61, vcc
	v_cndmask_b32_e64 v60, v54, v60, s[0:1]
	v_cndmask_b32_e64 v59, v54, v59, s[2:3]
	v_add_u32_e32 v61, s23, v61
	v_add_u32_e32 v60, s29, v60
	;; [unrolled: 1-line block ×3, first 2 shown]
	v_or_b32_sdwa v22, v64, v22 dst_sel:DWORD dst_unused:UNUSED_PAD src0_sel:BYTE_0 src1_sel:DWORD
	v_med3_i32 v64, v59, s31, v55
	v_med3_i32 v59, v60, s31, v55
	;; [unrolled: 1-line block ×3, first 2 shown]
	v_lshlrev_b16_e32 v60, 8, v60
	v_or_b32_sdwa v59, v59, v60 dst_sel:DWORD dst_unused:UNUSED_PAD src0_sel:BYTE_0 src1_sel:DWORD
	v_cvt_f32_f16_sdwa v61, v35 dst_sel:DWORD dst_unused:UNUSED_PAD src0_sel:WORD_1
	v_cvt_f32_f16_sdwa v60, v31 dst_sel:DWORD dst_unused:UNUSED_PAD src0_sel:WORD_1
	;; [unrolled: 1-line block ×4, first 2 shown]
	v_cvt_i32_f32_e32 v34, v34
	v_pk_mul_f32 v[60:61], v[40:41], v[60:61]
	v_rndne_f32_e32 v23, v60
	v_pk_mul_f32 v[62:63], v[38:39], v[62:63]
	v_rndne_f32_e32 v27, v62
	v_cmp_nge_f32_e64 s[6:7], s27, v23
	v_cndmask_b32_e64 v34, v54, v34, s[4:5]
	v_rndne_f32_e32 v31, v63
	v_cmp_nle_f32_e64 s[4:5], s26, v23
	v_cndmask_b32_e64 v23, v53, v23, s[6:7]
	v_cmp_nge_f32_e64 s[6:7], s27, v27
	v_cmp_nle_f32_e64 s[2:3], s26, v27
	v_cndmask_b32_e64 v27, v53, v27, s[6:7]
	v_cmp_nge_f32_e64 s[6:7], s27, v31
	v_cmp_nle_f32_e64 s[0:1], s26, v31
	v_cndmask_b32_e64 v31, v53, v31, s[6:7]
	v_cvt_i32_f32_e32 v31, v31
	v_cvt_i32_f32_e32 v27, v27
	v_rndne_f32_e32 v35, v61
	v_cmp_nge_f32_e64 s[6:7], s27, v35
	v_cndmask_b32_e64 v31, v54, v31, s[0:1]
	v_cndmask_b32_e64 v27, v54, v27, s[2:3]
	v_add_u32_e32 v31, s23, v31
	v_cmp_nle_f32_e32 vcc, s26, v35
	v_cndmask_b32_e64 v35, v53, v35, s[6:7]
	v_add_u32_e32 v60, s29, v27
	v_med3_i32 v31, v31, s31, v55
	v_cvt_i32_f32_e32 v35, v35
	v_cvt_i32_f32_e32 v23, v23
	v_med3_i32 v60, v60, s31, v55
	v_lshlrev_b16_e32 v31, 8, v31
	v_or_b32_sdwa v31, v60, v31 dst_sel:DWORD dst_unused:UNUSED_PAD src0_sel:BYTE_0 src1_sel:DWORD
	v_cvt_f32_f16_e32 v61, v36
	v_cvt_f32_f16_e32 v60, v32
	;; [unrolled: 1-line block ×4, first 2 shown]
	v_cndmask_b32_e64 v23, v54, v23, s[4:5]
	v_cndmask_b32_e32 v35, v54, v35, vcc
	v_add_u32_e32 v35, s25, v35
	v_add_u32_e32 v23, s24, v23
	v_pk_mul_f32 v[60:61], v[40:41], v[60:61]
	v_med3_i32 v27, v23, s31, v55
	v_med3_i32 v23, v35, s31, v55
	v_rndne_f32_e32 v35, v60
	v_pk_mul_f32 v[62:63], v[38:39], v[62:63]
	v_rndne_f32_e32 v60, v61
	v_cmp_nge_f32_e64 s[6:7], s27, v35
	v_rndne_f32_e32 v61, v62
	v_cmp_nle_f32_e64 s[4:5], s26, v35
	v_cndmask_b32_e64 v35, v53, v35, s[6:7]
	v_cmp_nge_f32_e64 s[6:7], s27, v60
	v_rndne_f32_e32 v62, v63
	v_cmp_nle_f32_e64 s[2:3], s26, v60
	v_cndmask_b32_e64 v60, v53, v60, s[6:7]
	v_cmp_nge_f32_e64 s[6:7], s27, v61
	v_cmp_nle_f32_e64 s[0:1], s26, v61
	v_cndmask_b32_e64 v61, v53, v61, s[6:7]
	v_cmp_nge_f32_e64 s[6:7], s27, v62
	v_cmp_nle_f32_e32 vcc, s26, v62
	v_cndmask_b32_e64 v62, v53, v62, s[6:7]
	v_cvt_i32_f32_e32 v62, v62
	v_cvt_i32_f32_e32 v61, v61
	;; [unrolled: 1-line block ×3, first 2 shown]
	v_lshlrev_b16_e32 v23, 8, v23
	v_cndmask_b32_e32 v62, v54, v62, vcc
	v_cndmask_b32_e64 v61, v54, v61, s[0:1]
	v_cndmask_b32_e64 v60, v54, v60, s[2:3]
	v_add_u32_e32 v62, s23, v62
	v_add_u32_e32 v61, s29, v61
	;; [unrolled: 1-line block ×3, first 2 shown]
	v_med3_i32 v66, v60, s31, v55
	v_med3_i32 v60, v61, s31, v55
	v_med3_i32 v61, v62, s31, v55
	v_cvt_f32_f16_sdwa v63, v36 dst_sel:DWORD dst_unused:UNUSED_PAD src0_sel:WORD_1
	v_cvt_f32_f16_sdwa v62, v32 dst_sel:DWORD dst_unused:UNUSED_PAD src0_sel:WORD_1
	v_or_b32_sdwa v23, v64, v23 dst_sel:WORD_1 dst_unused:UNUSED_PAD src0_sel:BYTE_0 src1_sel:DWORD
	v_cvt_f32_f16_sdwa v65, v28 dst_sel:DWORD dst_unused:UNUSED_PAD src0_sel:WORD_1
	v_cvt_f32_f16_sdwa v64, v24 dst_sel:DWORD dst_unused:UNUSED_PAD src0_sel:WORD_1
	v_cvt_i32_f32_e32 v35, v35
	v_pk_mul_f32 v[62:63], v[40:41], v[62:63]
	v_rndne_f32_e32 v24, v62
	v_pk_mul_f32 v[64:65], v[38:39], v[64:65]
	v_rndne_f32_e32 v28, v64
	v_cmp_nge_f32_e64 s[6:7], s27, v24
	v_cndmask_b32_e64 v35, v54, v35, s[4:5]
	v_rndne_f32_e32 v32, v65
	v_cmp_nle_f32_e64 s[4:5], s26, v24
	v_cndmask_b32_e64 v24, v53, v24, s[6:7]
	v_cmp_nge_f32_e64 s[6:7], s27, v28
	v_rndne_f32_e32 v36, v63
	v_cmp_nle_f32_e64 s[2:3], s26, v28
	v_cndmask_b32_e64 v28, v53, v28, s[6:7]
	v_cmp_nge_f32_e64 s[6:7], s27, v32
	v_cmp_nle_f32_e64 s[0:1], s26, v32
	v_cndmask_b32_e64 v32, v53, v32, s[6:7]
	v_cmp_nge_f32_e64 s[6:7], s27, v36
	v_cmp_nle_f32_e32 vcc, s26, v36
	v_cndmask_b32_e64 v36, v53, v36, s[6:7]
	v_cvt_i32_f32_e32 v32, v32
	v_cvt_i32_f32_e32 v36, v36
	;; [unrolled: 1-line block ×4, first 2 shown]
	v_cvt_f32_f16_e32 v63, v37
	v_cvt_f32_f16_e32 v62, v33
	v_cndmask_b32_e64 v32, v54, v32, s[0:1]
	v_cvt_f32_f16_e32 v65, v29
	v_cvt_f32_f16_e32 v64, v25
	v_lshlrev_b16_e32 v61, 8, v61
	v_cndmask_b32_e64 v24, v54, v24, s[4:5]
	v_cndmask_b32_e64 v28, v54, v28, s[2:3]
	v_cndmask_b32_e32 v36, v54, v36, vcc
	v_add_u32_e32 v32, s23, v32
	v_or_b32_sdwa v60, v60, v61 dst_sel:DWORD dst_unused:UNUSED_PAD src0_sel:BYTE_0 src1_sel:DWORD
	v_add_u32_e32 v36, s25, v36
	v_add_u32_e32 v61, s29, v28
	;; [unrolled: 1-line block ×3, first 2 shown]
	v_med3_i32 v32, v32, s31, v55
	v_pk_mul_f32 v[62:63], v[40:41], v[62:63]
	v_med3_i32 v28, v24, s31, v55
	v_med3_i32 v61, v61, s31, v55
	;; [unrolled: 1-line block ×3, first 2 shown]
	v_lshlrev_b16_e32 v32, 8, v32
	v_rndne_f32_e32 v36, v62
	v_or_b32_sdwa v32, v61, v32 dst_sel:DWORD dst_unused:UNUSED_PAD src0_sel:BYTE_0 src1_sel:DWORD
	v_pk_mul_f32 v[64:65], v[38:39], v[64:65]
	v_rndne_f32_e32 v61, v63
	v_cmp_nge_f32_e64 s[6:7], s27, v36
	v_rndne_f32_e32 v62, v64
	v_cmp_nle_f32_e64 s[4:5], s26, v36
	v_cndmask_b32_e64 v36, v53, v36, s[6:7]
	v_cmp_nge_f32_e64 s[6:7], s27, v61
	v_rndne_f32_e32 v63, v65
	v_cmp_nle_f32_e64 s[2:3], s26, v61
	v_cndmask_b32_e64 v61, v53, v61, s[6:7]
	v_cmp_nge_f32_e64 s[6:7], s27, v62
	v_cmp_nle_f32_e64 s[0:1], s26, v62
	v_cndmask_b32_e64 v62, v53, v62, s[6:7]
	v_cmp_nge_f32_e64 s[6:7], s27, v63
	v_cmp_nle_f32_e32 vcc, s26, v63
	v_cndmask_b32_e64 v63, v53, v63, s[6:7]
	v_cvt_i32_f32_e32 v63, v63
	v_cvt_i32_f32_e32 v62, v62
	;; [unrolled: 1-line block ×3, first 2 shown]
	v_lshlrev_b16_e32 v24, 8, v24
	v_cndmask_b32_e32 v63, v54, v63, vcc
	v_cndmask_b32_e64 v62, v54, v62, s[0:1]
	v_cndmask_b32_e64 v61, v54, v61, s[2:3]
	v_add_u32_e32 v63, s23, v63
	v_add_u32_e32 v62, s29, v62
	;; [unrolled: 1-line block ×3, first 2 shown]
	v_or_b32_sdwa v24, v66, v24 dst_sel:DWORD dst_unused:UNUSED_PAD src0_sel:BYTE_0 src1_sel:DWORD
	v_med3_i32 v66, v61, s31, v55
	v_med3_i32 v61, v62, s31, v55
	;; [unrolled: 1-line block ×3, first 2 shown]
	v_lshlrev_b16_e32 v62, 8, v62
	v_or_b32_sdwa v61, v61, v62 dst_sel:DWORD dst_unused:UNUSED_PAD src0_sel:BYTE_0 src1_sel:DWORD
	v_cvt_f32_f16_sdwa v63, v37 dst_sel:DWORD dst_unused:UNUSED_PAD src0_sel:WORD_1
	v_cvt_f32_f16_sdwa v62, v33 dst_sel:DWORD dst_unused:UNUSED_PAD src0_sel:WORD_1
	;; [unrolled: 1-line block ×4, first 2 shown]
	v_cvt_i32_f32_e32 v36, v36
	v_pk_mul_f32 v[62:63], v[40:41], v[62:63]
	v_rndne_f32_e32 v25, v62
	v_pk_mul_f32 v[64:65], v[38:39], v[64:65]
	v_rndne_f32_e32 v29, v64
	v_cmp_nge_f32_e64 s[6:7], s27, v25
	v_cndmask_b32_e64 v36, v54, v36, s[4:5]
	v_rndne_f32_e32 v33, v65
	v_cmp_nle_f32_e64 s[4:5], s26, v25
	v_cndmask_b32_e64 v25, v53, v25, s[6:7]
	v_cmp_nge_f32_e64 s[6:7], s27, v29
	v_cmp_nle_f32_e64 s[2:3], s26, v29
	v_cndmask_b32_e64 v29, v53, v29, s[6:7]
	v_cmp_nge_f32_e64 s[6:7], s27, v33
	v_cmp_nle_f32_e64 s[0:1], s26, v33
	v_cndmask_b32_e64 v33, v53, v33, s[6:7]
	v_cvt_i32_f32_e32 v33, v33
	v_cvt_i32_f32_e32 v29, v29
	v_rndne_f32_e32 v37, v63
	v_cmp_nge_f32_e64 s[6:7], s27, v37
	v_cndmask_b32_e64 v33, v54, v33, s[0:1]
	v_cndmask_b32_e64 v29, v54, v29, s[2:3]
	v_add_u32_e32 v33, s23, v33
	v_cmp_nle_f32_e32 vcc, s26, v37
	v_cndmask_b32_e64 v37, v53, v37, s[6:7]
	v_add_u32_e32 v62, s29, v29
	v_med3_i32 v33, v33, s31, v55
	v_cvt_i32_f32_e32 v37, v37
	v_cvt_i32_f32_e32 v25, v25
	v_med3_i32 v62, v62, s31, v55
	v_lshlrev_b16_e32 v33, 8, v33
	v_or_b32_sdwa v33, v62, v33 dst_sel:DWORD dst_unused:UNUSED_PAD src0_sel:BYTE_0 src1_sel:DWORD
	s_waitcnt vmcnt(0)
	v_cvt_f32_f16_e32 v63, v18
	v_cvt_f32_f16_e32 v62, v14
	;; [unrolled: 1-line block ×4, first 2 shown]
	v_cndmask_b32_e64 v25, v54, v25, s[4:5]
	v_cndmask_b32_e32 v37, v54, v37, vcc
	v_add_u32_e32 v37, s25, v37
	v_add_u32_e32 v25, s24, v25
	v_pk_mul_f32 v[62:63], v[40:41], v[62:63]
	v_med3_i32 v29, v25, s31, v55
	v_med3_i32 v25, v37, s31, v55
	v_rndne_f32_e32 v37, v62
	v_pk_mul_f32 v[64:65], v[38:39], v[64:65]
	v_rndne_f32_e32 v62, v63
	v_cmp_nge_f32_e64 s[6:7], s27, v37
	v_rndne_f32_e32 v63, v64
	v_cmp_nle_f32_e64 s[4:5], s26, v37
	v_cndmask_b32_e64 v37, v53, v37, s[6:7]
	v_cmp_nge_f32_e64 s[6:7], s27, v62
	v_rndne_f32_e32 v64, v65
	v_cmp_nle_f32_e64 s[2:3], s26, v62
	v_cndmask_b32_e64 v62, v53, v62, s[6:7]
	v_cmp_nge_f32_e64 s[6:7], s27, v63
	v_cmp_nle_f32_e64 s[0:1], s26, v63
	v_cndmask_b32_e64 v63, v53, v63, s[6:7]
	v_cmp_nge_f32_e64 s[6:7], s27, v64
	v_cmp_nle_f32_e32 vcc, s26, v64
	v_cndmask_b32_e64 v64, v53, v64, s[6:7]
	v_cvt_i32_f32_e32 v64, v64
	v_cvt_i32_f32_e32 v63, v63
	;; [unrolled: 1-line block ×3, first 2 shown]
	v_lshlrev_b16_e32 v25, 8, v25
	v_cndmask_b32_e32 v64, v54, v64, vcc
	v_cndmask_b32_e64 v63, v54, v63, s[0:1]
	v_cndmask_b32_e64 v62, v54, v62, s[2:3]
	v_add_u32_e32 v64, s23, v64
	v_add_u32_e32 v63, s29, v63
	v_add_u32_e32 v62, s25, v62
	v_med3_i32 v68, v62, s31, v55
	v_med3_i32 v62, v63, s31, v55
	;; [unrolled: 1-line block ×3, first 2 shown]
	v_cvt_f32_f16_sdwa v65, v18 dst_sel:DWORD dst_unused:UNUSED_PAD src0_sel:WORD_1
	v_cvt_f32_f16_sdwa v64, v14 dst_sel:DWORD dst_unused:UNUSED_PAD src0_sel:WORD_1
	v_or_b32_sdwa v25, v66, v25 dst_sel:WORD_1 dst_unused:UNUSED_PAD src0_sel:BYTE_0 src1_sel:DWORD
	v_cvt_f32_f16_sdwa v67, v10 dst_sel:DWORD dst_unused:UNUSED_PAD src0_sel:WORD_1
	v_cvt_f32_f16_sdwa v66, v6 dst_sel:DWORD dst_unused:UNUSED_PAD src0_sel:WORD_1
	v_cvt_i32_f32_e32 v37, v37
	v_pk_mul_f32 v[64:65], v[40:41], v[64:65]
	v_rndne_f32_e32 v6, v64
	v_pk_mul_f32 v[66:67], v[38:39], v[66:67]
	v_rndne_f32_e32 v10, v66
	v_cmp_nge_f32_e64 s[6:7], s27, v6
	v_cndmask_b32_e64 v37, v54, v37, s[4:5]
	v_rndne_f32_e32 v14, v67
	v_cmp_nle_f32_e64 s[4:5], s26, v6
	v_cndmask_b32_e64 v6, v53, v6, s[6:7]
	v_cmp_nge_f32_e64 s[6:7], s27, v10
	v_rndne_f32_e32 v18, v65
	v_cmp_nle_f32_e64 s[2:3], s26, v10
	v_cndmask_b32_e64 v10, v53, v10, s[6:7]
	v_cmp_nge_f32_e64 s[6:7], s27, v14
	v_cmp_nle_f32_e64 s[0:1], s26, v14
	v_cndmask_b32_e64 v14, v53, v14, s[6:7]
	v_cmp_nge_f32_e64 s[6:7], s27, v18
	v_cmp_nle_f32_e32 vcc, s26, v18
	v_cndmask_b32_e64 v18, v53, v18, s[6:7]
	v_cvt_i32_f32_e32 v14, v14
	v_cvt_i32_f32_e32 v18, v18
	;; [unrolled: 1-line block ×4, first 2 shown]
	v_cvt_f32_f16_e32 v65, v19
	v_cvt_f32_f16_e32 v64, v15
	v_cndmask_b32_e64 v14, v54, v14, s[0:1]
	v_cvt_f32_f16_e32 v67, v11
	v_cvt_f32_f16_e32 v66, v7
	v_lshlrev_b16_e32 v63, 8, v63
	v_cndmask_b32_e64 v6, v54, v6, s[4:5]
	v_cndmask_b32_e64 v10, v54, v10, s[2:3]
	v_cndmask_b32_e32 v18, v54, v18, vcc
	v_add_u32_e32 v14, s23, v14
	v_or_b32_sdwa v62, v62, v63 dst_sel:DWORD dst_unused:UNUSED_PAD src0_sel:BYTE_0 src1_sel:DWORD
	v_add_u32_e32 v18, s25, v18
	v_add_u32_e32 v63, s29, v10
	;; [unrolled: 1-line block ×3, first 2 shown]
	v_med3_i32 v14, v14, s31, v55
	v_pk_mul_f32 v[64:65], v[40:41], v[64:65]
	v_med3_i32 v10, v6, s31, v55
	v_med3_i32 v63, v63, s31, v55
	;; [unrolled: 1-line block ×3, first 2 shown]
	v_lshlrev_b16_e32 v14, 8, v14
	v_rndne_f32_e32 v18, v64
	v_or_b32_sdwa v14, v63, v14 dst_sel:DWORD dst_unused:UNUSED_PAD src0_sel:BYTE_0 src1_sel:DWORD
	v_pk_mul_f32 v[66:67], v[38:39], v[66:67]
	v_rndne_f32_e32 v63, v65
	v_cmp_nge_f32_e64 s[6:7], s27, v18
	v_rndne_f32_e32 v64, v66
	v_cmp_nle_f32_e64 s[4:5], s26, v18
	v_cndmask_b32_e64 v18, v53, v18, s[6:7]
	v_cmp_nge_f32_e64 s[6:7], s27, v63
	v_rndne_f32_e32 v65, v67
	v_cmp_nle_f32_e64 s[2:3], s26, v63
	v_cndmask_b32_e64 v63, v53, v63, s[6:7]
	v_cmp_nge_f32_e64 s[6:7], s27, v64
	v_cmp_nle_f32_e64 s[0:1], s26, v64
	v_cndmask_b32_e64 v64, v53, v64, s[6:7]
	v_cmp_nge_f32_e64 s[6:7], s27, v65
	v_cmp_nle_f32_e32 vcc, s26, v65
	v_cndmask_b32_e64 v65, v53, v65, s[6:7]
	v_cvt_i32_f32_e32 v65, v65
	v_cvt_i32_f32_e32 v64, v64
	;; [unrolled: 1-line block ×3, first 2 shown]
	v_lshlrev_b16_e32 v6, 8, v6
	v_cndmask_b32_e32 v65, v54, v65, vcc
	v_cndmask_b32_e64 v64, v54, v64, s[0:1]
	v_cndmask_b32_e64 v63, v54, v63, s[2:3]
	v_add_u32_e32 v65, s23, v65
	v_add_u32_e32 v64, s29, v64
	;; [unrolled: 1-line block ×3, first 2 shown]
	v_or_b32_sdwa v6, v68, v6 dst_sel:DWORD dst_unused:UNUSED_PAD src0_sel:BYTE_0 src1_sel:DWORD
	v_med3_i32 v68, v63, s31, v55
	v_med3_i32 v63, v64, s31, v55
	;; [unrolled: 1-line block ×3, first 2 shown]
	v_lshlrev_b16_e32 v64, 8, v64
	v_or_b32_sdwa v63, v63, v64 dst_sel:DWORD dst_unused:UNUSED_PAD src0_sel:BYTE_0 src1_sel:DWORD
	v_cvt_f32_f16_sdwa v65, v19 dst_sel:DWORD dst_unused:UNUSED_PAD src0_sel:WORD_1
	v_cvt_f32_f16_sdwa v64, v15 dst_sel:DWORD dst_unused:UNUSED_PAD src0_sel:WORD_1
	;; [unrolled: 1-line block ×4, first 2 shown]
	v_cvt_i32_f32_e32 v18, v18
	v_pk_mul_f32 v[64:65], v[40:41], v[64:65]
	v_rndne_f32_e32 v7, v64
	v_pk_mul_f32 v[66:67], v[38:39], v[66:67]
	v_rndne_f32_e32 v11, v66
	v_cmp_nge_f32_e64 s[6:7], s27, v7
	v_cndmask_b32_e64 v18, v54, v18, s[4:5]
	v_rndne_f32_e32 v15, v67
	v_cmp_nle_f32_e64 s[4:5], s26, v7
	v_cndmask_b32_e64 v7, v53, v7, s[6:7]
	v_cmp_nge_f32_e64 s[6:7], s27, v11
	v_cmp_nle_f32_e64 s[2:3], s26, v11
	v_cndmask_b32_e64 v11, v53, v11, s[6:7]
	v_cmp_nge_f32_e64 s[6:7], s27, v15
	v_cmp_nle_f32_e64 s[0:1], s26, v15
	v_cndmask_b32_e64 v15, v53, v15, s[6:7]
	v_cvt_i32_f32_e32 v15, v15
	v_cvt_i32_f32_e32 v11, v11
	v_rndne_f32_e32 v19, v65
	v_cmp_nge_f32_e64 s[6:7], s27, v19
	v_cndmask_b32_e64 v15, v54, v15, s[0:1]
	v_cndmask_b32_e64 v11, v54, v11, s[2:3]
	v_add_u32_e32 v15, s23, v15
	v_cmp_nle_f32_e32 vcc, s26, v19
	v_cndmask_b32_e64 v19, v53, v19, s[6:7]
	v_add_u32_e32 v64, s29, v11
	v_med3_i32 v15, v15, s31, v55
	v_cvt_i32_f32_e32 v19, v19
	v_cvt_i32_f32_e32 v7, v7
	v_med3_i32 v64, v64, s31, v55
	v_lshlrev_b16_e32 v15, 8, v15
	v_or_b32_sdwa v15, v64, v15 dst_sel:DWORD dst_unused:UNUSED_PAD src0_sel:BYTE_0 src1_sel:DWORD
	v_cvt_f32_f16_e32 v65, v20
	v_cvt_f32_f16_e32 v64, v16
	;; [unrolled: 1-line block ×4, first 2 shown]
	v_cndmask_b32_e64 v7, v54, v7, s[4:5]
	v_cndmask_b32_e32 v19, v54, v19, vcc
	v_add_u32_e32 v19, s25, v19
	v_add_u32_e32 v7, s24, v7
	v_pk_mul_f32 v[64:65], v[40:41], v[64:65]
	v_med3_i32 v11, v7, s31, v55
	v_med3_i32 v7, v19, s31, v55
	v_rndne_f32_e32 v19, v64
	v_pk_mul_f32 v[66:67], v[38:39], v[66:67]
	v_rndne_f32_e32 v64, v65
	v_cmp_nge_f32_e64 s[6:7], s27, v19
	v_rndne_f32_e32 v65, v66
	v_cmp_nle_f32_e64 s[4:5], s26, v19
	v_cndmask_b32_e64 v19, v53, v19, s[6:7]
	v_cmp_nge_f32_e64 s[6:7], s27, v64
	v_rndne_f32_e32 v66, v67
	v_cmp_nle_f32_e64 s[2:3], s26, v64
	v_cndmask_b32_e64 v64, v53, v64, s[6:7]
	v_cmp_nge_f32_e64 s[6:7], s27, v65
	v_cmp_nle_f32_e64 s[0:1], s26, v65
	v_cndmask_b32_e64 v65, v53, v65, s[6:7]
	v_cmp_nge_f32_e64 s[6:7], s27, v66
	v_cmp_nle_f32_e32 vcc, s26, v66
	v_cndmask_b32_e64 v66, v53, v66, s[6:7]
	v_cvt_i32_f32_e32 v66, v66
	v_cvt_i32_f32_e32 v65, v65
	;; [unrolled: 1-line block ×3, first 2 shown]
	v_lshlrev_b16_e32 v7, 8, v7
	v_cndmask_b32_e32 v66, v54, v66, vcc
	v_cndmask_b32_e64 v65, v54, v65, s[0:1]
	v_cndmask_b32_e64 v64, v54, v64, s[2:3]
	v_add_u32_e32 v66, s23, v66
	v_add_u32_e32 v65, s29, v65
	;; [unrolled: 1-line block ×3, first 2 shown]
	v_med3_i32 v70, v64, s31, v55
	v_med3_i32 v64, v65, s31, v55
	v_med3_i32 v65, v66, s31, v55
	v_cvt_f32_f16_sdwa v67, v20 dst_sel:DWORD dst_unused:UNUSED_PAD src0_sel:WORD_1
	v_cvt_f32_f16_sdwa v66, v16 dst_sel:DWORD dst_unused:UNUSED_PAD src0_sel:WORD_1
	v_or_b32_sdwa v7, v68, v7 dst_sel:WORD_1 dst_unused:UNUSED_PAD src0_sel:BYTE_0 src1_sel:DWORD
	v_cvt_f32_f16_sdwa v69, v12 dst_sel:DWORD dst_unused:UNUSED_PAD src0_sel:WORD_1
	v_cvt_f32_f16_sdwa v68, v8 dst_sel:DWORD dst_unused:UNUSED_PAD src0_sel:WORD_1
	v_cvt_i32_f32_e32 v19, v19
	v_pk_mul_f32 v[66:67], v[40:41], v[66:67]
	v_rndne_f32_e32 v8, v66
	v_pk_mul_f32 v[68:69], v[38:39], v[68:69]
	v_rndne_f32_e32 v12, v68
	v_cmp_nge_f32_e64 s[6:7], s27, v8
	v_cndmask_b32_e64 v19, v54, v19, s[4:5]
	v_rndne_f32_e32 v16, v69
	v_cmp_nle_f32_e64 s[4:5], s26, v8
	v_cndmask_b32_e64 v8, v53, v8, s[6:7]
	v_cmp_nge_f32_e64 s[6:7], s27, v12
	v_rndne_f32_e32 v20, v67
	v_cmp_nle_f32_e64 s[2:3], s26, v12
	v_cndmask_b32_e64 v12, v53, v12, s[6:7]
	v_cmp_nge_f32_e64 s[6:7], s27, v16
	v_cmp_nle_f32_e64 s[0:1], s26, v16
	v_cndmask_b32_e64 v16, v53, v16, s[6:7]
	v_cmp_nge_f32_e64 s[6:7], s27, v20
	v_cmp_nle_f32_e32 vcc, s26, v20
	v_cndmask_b32_e64 v20, v53, v20, s[6:7]
	v_cvt_i32_f32_e32 v16, v16
	v_cvt_i32_f32_e32 v20, v20
	;; [unrolled: 1-line block ×4, first 2 shown]
	v_cvt_f32_f16_e32 v67, v21
	v_cvt_f32_f16_e32 v66, v17
	v_cndmask_b32_e64 v16, v54, v16, s[0:1]
	v_cvt_f32_f16_e32 v69, v13
	v_cvt_f32_f16_e32 v68, v9
	v_lshlrev_b16_e32 v65, 8, v65
	v_cndmask_b32_e64 v8, v54, v8, s[4:5]
	v_cndmask_b32_e64 v12, v54, v12, s[2:3]
	v_cndmask_b32_e32 v20, v54, v20, vcc
	v_add_u32_e32 v16, s23, v16
	v_or_b32_sdwa v64, v64, v65 dst_sel:DWORD dst_unused:UNUSED_PAD src0_sel:BYTE_0 src1_sel:DWORD
	v_add_u32_e32 v20, s25, v20
	v_add_u32_e32 v65, s29, v12
	;; [unrolled: 1-line block ×3, first 2 shown]
	v_med3_i32 v16, v16, s31, v55
	v_pk_mul_f32 v[66:67], v[40:41], v[66:67]
	v_med3_i32 v12, v8, s31, v55
	v_med3_i32 v65, v65, s31, v55
	;; [unrolled: 1-line block ×3, first 2 shown]
	v_lshlrev_b16_e32 v16, 8, v16
	v_rndne_f32_e32 v20, v66
	v_or_b32_sdwa v16, v65, v16 dst_sel:DWORD dst_unused:UNUSED_PAD src0_sel:BYTE_0 src1_sel:DWORD
	v_pk_mul_f32 v[68:69], v[38:39], v[68:69]
	v_rndne_f32_e32 v65, v67
	v_cmp_nge_f32_e64 s[6:7], s27, v20
	v_rndne_f32_e32 v66, v68
	v_cmp_nle_f32_e64 s[4:5], s26, v20
	v_cndmask_b32_e64 v20, v53, v20, s[6:7]
	v_cmp_nge_f32_e64 s[6:7], s27, v65
	v_rndne_f32_e32 v67, v69
	v_cmp_nle_f32_e64 s[2:3], s26, v65
	v_cndmask_b32_e64 v65, v53, v65, s[6:7]
	v_cmp_nge_f32_e64 s[6:7], s27, v66
	v_cmp_nle_f32_e64 s[0:1], s26, v66
	v_cndmask_b32_e64 v66, v53, v66, s[6:7]
	v_cmp_nge_f32_e64 s[6:7], s27, v67
	v_cmp_nle_f32_e32 vcc, s26, v67
	v_cndmask_b32_e64 v67, v53, v67, s[6:7]
	v_cvt_i32_f32_e32 v67, v67
	v_cvt_i32_f32_e32 v66, v66
	;; [unrolled: 1-line block ×3, first 2 shown]
	v_lshlrev_b16_e32 v8, 8, v8
	v_cndmask_b32_e32 v67, v54, v67, vcc
	v_cndmask_b32_e64 v66, v54, v66, s[0:1]
	v_cndmask_b32_e64 v65, v54, v65, s[2:3]
	v_add_u32_e32 v67, s23, v67
	v_add_u32_e32 v66, s29, v66
	v_add_u32_e32 v65, s25, v65
	v_or_b32_sdwa v8, v70, v8 dst_sel:DWORD dst_unused:UNUSED_PAD src0_sel:BYTE_0 src1_sel:DWORD
	v_med3_i32 v70, v65, s31, v55
	v_med3_i32 v65, v66, s31, v55
	;; [unrolled: 1-line block ×3, first 2 shown]
	v_lshlrev_b16_e32 v66, 8, v66
	v_or_b32_sdwa v65, v65, v66 dst_sel:DWORD dst_unused:UNUSED_PAD src0_sel:BYTE_0 src1_sel:DWORD
	v_cvt_f32_f16_sdwa v67, v21 dst_sel:DWORD dst_unused:UNUSED_PAD src0_sel:WORD_1
	v_cvt_f32_f16_sdwa v66, v17 dst_sel:DWORD dst_unused:UNUSED_PAD src0_sel:WORD_1
	;; [unrolled: 1-line block ×4, first 2 shown]
	v_cvt_i32_f32_e32 v20, v20
	v_pk_mul_f32 v[66:67], v[40:41], v[66:67]
	v_rndne_f32_e32 v9, v66
	v_pk_mul_f32 v[68:69], v[38:39], v[68:69]
	v_rndne_f32_e32 v13, v68
	v_cmp_nge_f32_e64 s[6:7], s27, v9
	v_cndmask_b32_e64 v20, v54, v20, s[4:5]
	v_rndne_f32_e32 v17, v69
	v_cmp_nle_f32_e64 s[4:5], s26, v9
	v_cndmask_b32_e64 v9, v53, v9, s[6:7]
	v_cmp_nge_f32_e64 s[6:7], s27, v13
	v_rndne_f32_e32 v21, v67
	v_cmp_nle_f32_e64 s[2:3], s26, v13
	v_cndmask_b32_e64 v13, v53, v13, s[6:7]
	v_cmp_nge_f32_e64 s[6:7], s27, v17
	v_cmp_nle_f32_e64 s[0:1], s26, v17
	v_cndmask_b32_e64 v17, v53, v17, s[6:7]
	v_cmp_nge_f32_e64 s[6:7], s27, v21
	v_cmp_nle_f32_e32 vcc, s26, v21
	v_cndmask_b32_e64 v21, v53, v21, s[6:7]
	v_cvt_i32_f32_e32 v21, v21
	v_cvt_i32_f32_e32 v17, v17
	;; [unrolled: 1-line block ×3, first 2 shown]
	v_lshlrev_b64 v[66:67], 4, v[42:43]
	v_cndmask_b32_e32 v21, v54, v21, vcc
	v_cndmask_b32_e64 v17, v54, v17, s[0:1]
	v_add_co_u32_e32 v66, vcc, s16, v66
	v_cndmask_b32_e64 v13, v54, v13, s[2:3]
	v_add_u32_e32 v17, s23, v17
	v_addc_co_u32_e32 v67, vcc, v56, v67, vcc
	v_add_u32_e32 v13, s29, v13
	v_med3_i32 v17, v17, s31, v55
	v_add_co_u32_e32 v44, vcc, s16, v44
	v_add_u32_e32 v1, s24, v1
	v_and_b32_e32 v58, 0xffff, v58
	v_med3_i32 v13, v13, s31, v55
	v_lshlrev_b16_e32 v17, 8, v17
	v_addc_co_u32_e32 v45, vcc, v56, v45, vcc
	v_med3_i32 v1, v1, s31, v55
	v_and_b32_e32 v30, 0xffff, v30
	v_or_b32_sdwa v13, v13, v17 dst_sel:DWORD dst_unused:UNUSED_PAD src0_sel:BYTE_0 src1_sel:DWORD
	v_add_co_u32_e32 v46, vcc, s16, v46
	v_lshrrev_b32_e32 v17, 8, v58
	v_and_b32_e32 v59, 0xffff, v59
	v_addc_co_u32_e32 v47, vcc, v56, v47, vcc
	global_store_byte v[66:67], v58, off
	global_store_byte v[44:45], v17, off
	;; [unrolled: 1-line block ×3, first 2 shown]
	global_store_byte v[66:67], v30, off offset:1
	v_lshrrev_b32_e32 v1, 8, v30
	v_add_u32_e32 v34, s24, v34
	v_and_b32_e32 v31, 0xffff, v31
	global_store_byte v[44:45], v1, off offset:1
	global_store_byte v[46:47], v26, off offset:1
	global_store_byte v[66:67], v59, off offset:2
	v_lshrrev_b32_e32 v1, 8, v59
	v_med3_i32 v34, v34, s31, v55
	v_and_b32_e32 v60, 0xffff, v60
	global_store_byte v[44:45], v1, off offset:2
	global_store_byte v[46:47], v34, off offset:2
	global_store_byte v[66:67], v31, off offset:3
	v_lshrrev_b32_e32 v1, 8, v31
	v_add_u32_e32 v35, s24, v35
	v_and_b32_e32 v32, 0xffff, v32
	global_store_byte v[44:45], v1, off offset:3
	global_store_byte v[46:47], v27, off offset:3
	global_store_byte v[66:67], v60, off offset:4
	v_lshrrev_b32_e32 v1, 8, v60
	v_med3_i32 v35, v35, s31, v55
	v_and_b32_e32 v61, 0xffff, v61
	global_store_byte v[44:45], v1, off offset:4
	global_store_byte v[46:47], v35, off offset:4
	;; [unrolled: 12-line block ×3, first 2 shown]
	global_store_byte v[66:67], v33, off offset:7
	v_lshrrev_b32_e32 v1, 8, v33
	v_add_u32_e32 v37, s24, v37
	v_and_b32_e32 v14, 0xffff, v14
	global_store_byte v[44:45], v1, off offset:7
	global_store_byte v[46:47], v29, off offset:7
	;; [unrolled: 1-line block ×3, first 2 shown]
	v_lshrrev_b32_e32 v1, 8, v62
	v_med3_i32 v37, v37, s31, v55
	v_and_b32_e32 v63, 0xffff, v63
	v_cvt_i32_f32_e32 v9, v9
	global_store_byte v[44:45], v1, off offset:8
	global_store_byte v[46:47], v37, off offset:8
	;; [unrolled: 1-line block ×3, first 2 shown]
	v_lshrrev_b32_e32 v1, 8, v14
	v_add_u32_e32 v18, s24, v18
	v_and_b32_e32 v15, 0xffff, v15
	global_store_byte v[44:45], v1, off offset:9
	global_store_byte v[46:47], v10, off offset:9
	global_store_byte v[66:67], v63, off offset:10
	v_lshrrev_b32_e32 v1, 8, v63
	v_med3_i32 v18, v18, s31, v55
	v_and_b32_e32 v64, 0xffff, v64
	global_store_byte v[44:45], v1, off offset:10
	global_store_byte v[46:47], v18, off offset:10
	;; [unrolled: 1-line block ×3, first 2 shown]
	v_lshrrev_b32_e32 v1, 8, v15
	v_add_u32_e32 v19, s24, v19
	v_and_b32_e32 v16, 0xffff, v16
	v_add_u32_e32 v21, s25, v21
	global_store_byte v[44:45], v1, off offset:11
	global_store_byte v[46:47], v11, off offset:11
	;; [unrolled: 1-line block ×3, first 2 shown]
	v_lshrrev_b32_e32 v1, 8, v64
	v_med3_i32 v19, v19, s31, v55
	v_and_b32_e32 v65, 0xffff, v65
	v_cndmask_b32_e64 v9, v54, v9, s[4:5]
	v_med3_i32 v21, v21, s31, v55
	v_add_co_u32_e32 v48, vcc, s16, v48
	global_store_byte v[44:45], v1, off offset:12
	global_store_byte v[46:47], v19, off offset:12
	;; [unrolled: 1-line block ×3, first 2 shown]
	v_lshrrev_b32_e32 v1, 8, v16
	v_add_u32_e32 v20, s24, v20
	v_add_u32_e32 v9, s24, v9
	v_lshlrev_b16_e32 v21, 8, v21
	v_and_b32_e32 v13, 0xffff, v13
	v_addc_co_u32_e32 v49, vcc, v56, v49, vcc
	global_store_byte v[44:45], v1, off offset:13
	global_store_byte v[46:47], v12, off offset:13
	;; [unrolled: 1-line block ×3, first 2 shown]
	v_lshrrev_b32_e32 v1, 8, v65
	v_med3_i32 v20, v20, s31, v55
	v_med3_i32 v9, v9, s31, v55
	v_or_b32_sdwa v21, v70, v21 dst_sel:WORD_1 dst_unused:UNUSED_PAD src0_sel:BYTE_0 src1_sel:DWORD
	global_store_byte v[44:45], v1, off offset:14
	global_store_byte v[46:47], v20, off offset:14
	;; [unrolled: 1-line block ×3, first 2 shown]
	v_lshrrev_b32_e32 v1, 8, v13
	v_cmp_eq_u32_e32 vcc, 0, v57
	global_store_byte v[44:45], v1, off offset:15
	global_store_byte v[46:47], v9, off offset:15
	v_or_b32_sdwa v9, v8, v21 dst_sel:DWORD dst_unused:UNUSED_PAD src0_sel:WORD_0 src1_sel:DWORD
	v_or_b32_sdwa v8, v6, v7 dst_sel:DWORD dst_unused:UNUSED_PAD src0_sel:WORD_0 src1_sel:DWORD
	;; [unrolled: 1-line block ×4, first 2 shown]
	s_or_b64 s[20:21], vcc, s[20:21]
	global_store_dwordx4 v[48:49], v[6:9], off
	s_andn2_b64 exec, exec, s[20:21]
	s_cbranch_execnz .LBB3_102
; %bb.103:
	s_or_b64 exec, exec, s[20:21]
	v_cmp_ne_u32_e32 vcc, v50, v51
	v_add_u32_e32 v0, v0, v51
	s_orn2_b64 s[0:1], vcc, exec
.LBB3_104:
	s_or_b64 exec, exec, s[18:19]
	s_and_b64 exec, exec, s[0:1]
	s_cbranch_execz .LBB3_171
; %bb.105:
	v_mov_b32_e32 v1, 0
	s_add_u32 s0, s10, s14
	v_lshlrev_b64 v[2:3], 4, v[0:1]
	s_addc_u32 s1, s11, s15
	s_lshl_b32 s7, s28, 4
	v_mov_b32_e32 v4, s1
	v_add_co_u32_e32 v10, vcc, s0, v2
	s_add_u32 s0, s8, s12
	v_addc_co_u32_e32 v11, vcc, v4, v3, vcc
	v_lshlrev_b64 v[2:3], 5, v[0:1]
	s_addc_u32 s1, s9, s13
	s_mov_b32 s6, 0
	v_mov_b32_e32 v1, s1
	v_add_co_u32_e32 v12, vcc, s0, v2
	v_addc_co_u32_e32 v13, vcc, v1, v3, vcc
	s_lshl_b32 s8, s28, 5
	s_mov_b32 s9, s6
	s_mov_b64 s[0:1], 0
	s_mov_b32 s10, 0x4f000000
	s_mov_b32 s11, 0xcf000000
	s_movk_i32 s12, 0xff80
	v_mov_b32_e32 v1, 0x7f
	s_branch .LBB3_108
.LBB3_106:                              ;   in Loop: Header=BB3_108 Depth=1
	s_or_b64 exec, exec, s[4:5]
.LBB3_107:                              ;   in Loop: Header=BB3_108 Depth=1
	s_or_b64 exec, exec, s[2:3]
	v_add_u32_e32 v3, s29, v3
	v_add_u32_e32 v4, s29, v4
	;; [unrolled: 1-line block ×3, first 2 shown]
	v_med3_i32 v3, v3, s12, v1
	v_add_u32_e32 v21, s29, v21
	v_med3_i32 v4, v4, s12, v1
	v_med3_i32 v5, v5, s12, v1
	;; [unrolled: 1-line block ×3, first 2 shown]
	v_add_u32_e32 v2, s29, v2
	v_add_u32_e32 v9, s29, v9
	v_lshlrev_b16_e32 v3, 8, v3
	v_lshlrev_b16_e32 v4, 8, v4
	v_med3_i32 v2, v2, s12, v1
	v_add_u32_e32 v20, s29, v20
	v_med3_i32 v9, v9, s12, v1
	v_add_u32_e32 v19, s29, v19
	v_or_b32_sdwa v3, v21, v3 dst_sel:DWORD dst_unused:UNUSED_PAD src0_sel:BYTE_0 src1_sel:DWORD
	v_or_b32_sdwa v4, v5, v4 dst_sel:WORD_1 dst_unused:UNUSED_PAD src0_sel:BYTE_0 src1_sel:DWORD
	v_med3_i32 v20, v20, s12, v1
	v_med3_i32 v19, v19, s12, v1
	v_add_u32_e32 v8, s29, v8
	v_add_u32_e32 v7, s29, v7
	v_or_b32_sdwa v5, v3, v4 dst_sel:DWORD dst_unused:UNUSED_PAD src0_sel:WORD_0 src1_sel:DWORD
	v_lshlrev_b16_e32 v3, 8, v9
	v_lshlrev_b16_e32 v2, 8, v2
	v_med3_i32 v8, v8, s12, v1
	v_add_u32_e32 v18, s29, v18
	v_med3_i32 v7, v7, s12, v1
	v_add_u32_e32 v17, s29, v17
	v_or_b32_sdwa v3, v19, v3 dst_sel:DWORD dst_unused:UNUSED_PAD src0_sel:BYTE_0 src1_sel:DWORD
	v_or_b32_sdwa v2, v20, v2 dst_sel:WORD_1 dst_unused:UNUSED_PAD src0_sel:BYTE_0 src1_sel:DWORD
	v_med3_i32 v18, v18, s12, v1
	v_med3_i32 v17, v17, s12, v1
	v_add_u32_e32 v6, s29, v6
	v_add_u32_e32 v14, s29, v14
	v_or_b32_sdwa v4, v3, v2 dst_sel:DWORD dst_unused:UNUSED_PAD src0_sel:WORD_0 src1_sel:DWORD
	v_lshlrev_b16_e32 v2, 8, v7
	v_lshlrev_b16_e32 v3, 8, v8
	v_med3_i32 v6, v6, s12, v1
	v_add_u32_e32 v16, s29, v16
	v_med3_i32 v14, v14, s12, v1
	v_add_u32_e32 v15, s29, v15
	v_or_b32_sdwa v2, v17, v2 dst_sel:DWORD dst_unused:UNUSED_PAD src0_sel:BYTE_0 src1_sel:DWORD
	v_or_b32_sdwa v3, v18, v3 dst_sel:WORD_1 dst_unused:UNUSED_PAD src0_sel:BYTE_0 src1_sel:DWORD
	v_med3_i32 v16, v16, s12, v1
	v_med3_i32 v15, v15, s12, v1
	v_or_b32_sdwa v3, v2, v3 dst_sel:DWORD dst_unused:UNUSED_PAD src0_sel:WORD_0 src1_sel:DWORD
	v_lshlrev_b16_e32 v2, 8, v14
	v_lshlrev_b16_e32 v6, 8, v6
	v_or_b32_sdwa v2, v15, v2 dst_sel:DWORD dst_unused:UNUSED_PAD src0_sel:BYTE_0 src1_sel:DWORD
	v_or_b32_sdwa v6, v16, v6 dst_sel:WORD_1 dst_unused:UNUSED_PAD src0_sel:BYTE_0 src1_sel:DWORD
	v_or_b32_sdwa v2, v2, v6 dst_sel:DWORD dst_unused:UNUSED_PAD src0_sel:WORD_0 src1_sel:DWORD
	global_store_dwordx4 v[10:11], v[2:5], off
	v_add_co_u32_e32 v10, vcc, s7, v10
	v_mov_b32_e32 v2, s6
	v_add_u32_e32 v0, s28, v0
	v_addc_co_u32_e32 v11, vcc, v11, v2, vcc
	v_cmp_le_i32_e32 vcc, s22, v0
	v_mov_b32_e32 v2, s9
	s_or_b64 s[0:1], vcc, s[0:1]
	v_add_co_u32_e32 v12, vcc, s8, v12
	v_addc_co_u32_e32 v13, vcc, v13, v2, vcc
	s_andn2_b64 exec, exec, s[0:1]
	s_cbranch_execz .LBB3_171
.LBB3_108:                              ; =>This Inner Loop Header: Depth=1
	global_load_dwordx4 v[6:9], v[12:13], off
	global_load_dwordx4 v[2:5], v[12:13], off offset:16
	v_bfrev_b32_e32 v14, -2
	s_waitcnt vmcnt(1)
	v_cvt_f32_f16_e32 v15, v6
	v_mul_f32_e32 v15, v38, v15
	v_rndne_f32_e32 v16, v15
	v_cmp_nle_f32_e32 vcc, s10, v16
	v_bfrev_b32_e32 v15, -2
	s_and_saveexec_b64 s[2:3], vcc
	s_cbranch_execz .LBB3_112
; %bb.109:                              ;   in Loop: Header=BB3_108 Depth=1
	v_cmp_nge_f32_e32 vcc, s11, v16
	v_bfrev_b32_e32 v15, 1
	s_and_saveexec_b64 s[4:5], vcc
; %bb.110:                              ;   in Loop: Header=BB3_108 Depth=1
	v_cvt_i32_f32_e32 v15, v16
; %bb.111:                              ;   in Loop: Header=BB3_108 Depth=1
	s_or_b64 exec, exec, s[4:5]
.LBB3_112:                              ;   in Loop: Header=BB3_108 Depth=1
	s_or_b64 exec, exec, s[2:3]
	v_cvt_f32_f16_sdwa v6, v6 dst_sel:DWORD dst_unused:UNUSED_PAD src0_sel:WORD_1
	v_mul_f32_e32 v6, v38, v6
	v_rndne_f32_e32 v6, v6
	v_cmp_nle_f32_e32 vcc, s10, v6
	s_and_saveexec_b64 s[2:3], vcc
	s_cbranch_execz .LBB3_116
; %bb.113:                              ;   in Loop: Header=BB3_108 Depth=1
	v_cmp_nge_f32_e32 vcc, s11, v6
	v_bfrev_b32_e32 v14, 1
	s_and_saveexec_b64 s[4:5], vcc
; %bb.114:                              ;   in Loop: Header=BB3_108 Depth=1
	v_cvt_i32_f32_e32 v14, v6
; %bb.115:                              ;   in Loop: Header=BB3_108 Depth=1
	s_or_b64 exec, exec, s[4:5]
.LBB3_116:                              ;   in Loop: Header=BB3_108 Depth=1
	s_or_b64 exec, exec, s[2:3]
	v_cvt_f32_f16_e32 v16, v7
	v_bfrev_b32_e32 v6, -2
	v_mul_f32_e32 v16, v38, v16
	v_rndne_f32_e32 v17, v16
	v_cmp_nle_f32_e32 vcc, s10, v17
	v_bfrev_b32_e32 v16, -2
	s_and_saveexec_b64 s[2:3], vcc
	s_cbranch_execz .LBB3_120
; %bb.117:                              ;   in Loop: Header=BB3_108 Depth=1
	v_cmp_nge_f32_e32 vcc, s11, v17
	v_bfrev_b32_e32 v16, 1
	s_and_saveexec_b64 s[4:5], vcc
; %bb.118:                              ;   in Loop: Header=BB3_108 Depth=1
	v_cvt_i32_f32_e32 v16, v17
; %bb.119:                              ;   in Loop: Header=BB3_108 Depth=1
	s_or_b64 exec, exec, s[4:5]
.LBB3_120:                              ;   in Loop: Header=BB3_108 Depth=1
	s_or_b64 exec, exec, s[2:3]
	v_cvt_f32_f16_sdwa v7, v7 dst_sel:DWORD dst_unused:UNUSED_PAD src0_sel:WORD_1
	v_mul_f32_e32 v7, v38, v7
	v_rndne_f32_e32 v7, v7
	v_cmp_nle_f32_e32 vcc, s10, v7
	s_and_saveexec_b64 s[2:3], vcc
	s_cbranch_execz .LBB3_124
; %bb.121:                              ;   in Loop: Header=BB3_108 Depth=1
	v_cmp_nge_f32_e32 vcc, s11, v7
	v_bfrev_b32_e32 v6, 1
	s_and_saveexec_b64 s[4:5], vcc
; %bb.122:                              ;   in Loop: Header=BB3_108 Depth=1
	v_cvt_i32_f32_e32 v6, v7
; %bb.123:                              ;   in Loop: Header=BB3_108 Depth=1
	s_or_b64 exec, exec, s[4:5]
.LBB3_124:                              ;   in Loop: Header=BB3_108 Depth=1
	s_or_b64 exec, exec, s[2:3]
	v_cvt_f32_f16_e32 v17, v8
	v_bfrev_b32_e32 v7, -2
	;; [unrolled: 34-line block ×3, first 2 shown]
	v_mul_f32_e32 v18, v38, v18
	v_rndne_f32_e32 v19, v18
	v_cmp_nle_f32_e32 vcc, s10, v19
	v_bfrev_b32_e32 v18, -2
	s_and_saveexec_b64 s[2:3], vcc
	s_cbranch_execz .LBB3_136
; %bb.133:                              ;   in Loop: Header=BB3_108 Depth=1
	v_cmp_nge_f32_e32 vcc, s11, v19
	v_bfrev_b32_e32 v18, 1
	s_and_saveexec_b64 s[4:5], vcc
; %bb.134:                              ;   in Loop: Header=BB3_108 Depth=1
	v_cvt_i32_f32_e32 v18, v19
; %bb.135:                              ;   in Loop: Header=BB3_108 Depth=1
	s_or_b64 exec, exec, s[4:5]
.LBB3_136:                              ;   in Loop: Header=BB3_108 Depth=1
	s_or_b64 exec, exec, s[2:3]
	v_cvt_f32_f16_sdwa v9, v9 dst_sel:DWORD dst_unused:UNUSED_PAD src0_sel:WORD_1
	v_mul_f32_e32 v9, v38, v9
	v_rndne_f32_e32 v9, v9
	v_cmp_nle_f32_e32 vcc, s10, v9
	s_and_saveexec_b64 s[2:3], vcc
	s_cbranch_execz .LBB3_140
; %bb.137:                              ;   in Loop: Header=BB3_108 Depth=1
	v_cmp_nge_f32_e32 vcc, s11, v9
	v_bfrev_b32_e32 v8, 1
	s_and_saveexec_b64 s[4:5], vcc
; %bb.138:                              ;   in Loop: Header=BB3_108 Depth=1
	v_cvt_i32_f32_e32 v8, v9
; %bb.139:                              ;   in Loop: Header=BB3_108 Depth=1
	s_or_b64 exec, exec, s[4:5]
.LBB3_140:                              ;   in Loop: Header=BB3_108 Depth=1
	s_or_b64 exec, exec, s[2:3]
	s_waitcnt vmcnt(0)
	v_cvt_f32_f16_e32 v19, v2
	v_bfrev_b32_e32 v9, -2
	v_mul_f32_e32 v19, v38, v19
	v_rndne_f32_e32 v20, v19
	v_cmp_nle_f32_e32 vcc, s10, v20
	v_bfrev_b32_e32 v19, -2
	s_and_saveexec_b64 s[2:3], vcc
	s_cbranch_execz .LBB3_144
; %bb.141:                              ;   in Loop: Header=BB3_108 Depth=1
	v_cmp_nge_f32_e32 vcc, s11, v20
	v_bfrev_b32_e32 v19, 1
	s_and_saveexec_b64 s[4:5], vcc
; %bb.142:                              ;   in Loop: Header=BB3_108 Depth=1
	v_cvt_i32_f32_e32 v19, v20
; %bb.143:                              ;   in Loop: Header=BB3_108 Depth=1
	s_or_b64 exec, exec, s[4:5]
.LBB3_144:                              ;   in Loop: Header=BB3_108 Depth=1
	s_or_b64 exec, exec, s[2:3]
	v_cvt_f32_f16_sdwa v2, v2 dst_sel:DWORD dst_unused:UNUSED_PAD src0_sel:WORD_1
	v_mul_f32_e32 v2, v38, v2
	v_rndne_f32_e32 v2, v2
	v_cmp_nle_f32_e32 vcc, s10, v2
	s_and_saveexec_b64 s[2:3], vcc
	s_cbranch_execz .LBB3_148
; %bb.145:                              ;   in Loop: Header=BB3_108 Depth=1
	v_cmp_nge_f32_e32 vcc, s11, v2
	v_bfrev_b32_e32 v9, 1
	s_and_saveexec_b64 s[4:5], vcc
; %bb.146:                              ;   in Loop: Header=BB3_108 Depth=1
	v_cvt_i32_f32_e32 v9, v2
; %bb.147:                              ;   in Loop: Header=BB3_108 Depth=1
	s_or_b64 exec, exec, s[4:5]
.LBB3_148:                              ;   in Loop: Header=BB3_108 Depth=1
	s_or_b64 exec, exec, s[2:3]
	v_cvt_f32_f16_e32 v20, v3
	v_bfrev_b32_e32 v2, -2
	v_mul_f32_e32 v20, v38, v20
	v_rndne_f32_e32 v21, v20
	v_cmp_nle_f32_e32 vcc, s10, v21
	v_bfrev_b32_e32 v20, -2
	s_and_saveexec_b64 s[2:3], vcc
	s_cbranch_execz .LBB3_152
; %bb.149:                              ;   in Loop: Header=BB3_108 Depth=1
	v_cmp_nge_f32_e32 vcc, s11, v21
	v_bfrev_b32_e32 v20, 1
	s_and_saveexec_b64 s[4:5], vcc
; %bb.150:                              ;   in Loop: Header=BB3_108 Depth=1
	v_cvt_i32_f32_e32 v20, v21
; %bb.151:                              ;   in Loop: Header=BB3_108 Depth=1
	s_or_b64 exec, exec, s[4:5]
.LBB3_152:                              ;   in Loop: Header=BB3_108 Depth=1
	s_or_b64 exec, exec, s[2:3]
	v_cvt_f32_f16_sdwa v3, v3 dst_sel:DWORD dst_unused:UNUSED_PAD src0_sel:WORD_1
	v_mul_f32_e32 v3, v38, v3
	v_rndne_f32_e32 v3, v3
	v_cmp_nle_f32_e32 vcc, s10, v3
	s_and_saveexec_b64 s[2:3], vcc
	s_cbranch_execz .LBB3_156
; %bb.153:                              ;   in Loop: Header=BB3_108 Depth=1
	v_cmp_nge_f32_e32 vcc, s11, v3
	v_bfrev_b32_e32 v2, 1
	s_and_saveexec_b64 s[4:5], vcc
; %bb.154:                              ;   in Loop: Header=BB3_108 Depth=1
	v_cvt_i32_f32_e32 v2, v3
; %bb.155:                              ;   in Loop: Header=BB3_108 Depth=1
	s_or_b64 exec, exec, s[4:5]
.LBB3_156:                              ;   in Loop: Header=BB3_108 Depth=1
	s_or_b64 exec, exec, s[2:3]
	;; [unrolled: 34-line block ×3, first 2 shown]
	v_cvt_f32_f16_e32 v22, v5
	v_bfrev_b32_e32 v4, -2
	v_mul_f32_e32 v22, v38, v22
	v_rndne_f32_e32 v23, v22
	v_cmp_nle_f32_e32 vcc, s10, v23
	v_bfrev_b32_e32 v22, -2
	s_and_saveexec_b64 s[2:3], vcc
	s_cbranch_execz .LBB3_168
; %bb.165:                              ;   in Loop: Header=BB3_108 Depth=1
	v_cmp_nge_f32_e32 vcc, s11, v23
	v_bfrev_b32_e32 v22, 1
	s_and_saveexec_b64 s[4:5], vcc
; %bb.166:                              ;   in Loop: Header=BB3_108 Depth=1
	v_cvt_i32_f32_e32 v22, v23
; %bb.167:                              ;   in Loop: Header=BB3_108 Depth=1
	s_or_b64 exec, exec, s[4:5]
.LBB3_168:                              ;   in Loop: Header=BB3_108 Depth=1
	s_or_b64 exec, exec, s[2:3]
	v_cvt_f32_f16_sdwa v5, v5 dst_sel:DWORD dst_unused:UNUSED_PAD src0_sel:WORD_1
	v_mul_f32_e32 v5, v38, v5
	v_rndne_f32_e32 v5, v5
	v_cmp_nle_f32_e32 vcc, s10, v5
	s_and_saveexec_b64 s[2:3], vcc
	s_cbranch_execz .LBB3_107
; %bb.169:                              ;   in Loop: Header=BB3_108 Depth=1
	v_cmp_nge_f32_e32 vcc, s11, v5
	v_bfrev_b32_e32 v4, 1
	s_and_saveexec_b64 s[4:5], vcc
	s_cbranch_execz .LBB3_106
; %bb.170:                              ;   in Loop: Header=BB3_108 Depth=1
	v_cvt_i32_f32_e32 v4, v5
	s_branch .LBB3_106
.LBB3_171:
	s_endpgm
	.section	.rodata,"a",@progbits
	.p2align	6, 0x0
	.amdhsa_kernel _ZN4vllm35static_scaled_int8_azp_quant_kernelIN3c104HalfEfiEEvPKT_PaPKT0_PKT1_i
		.amdhsa_group_segment_fixed_size 0
		.amdhsa_private_segment_fixed_size 0
		.amdhsa_kernarg_size 296
		.amdhsa_user_sgpr_count 6
		.amdhsa_user_sgpr_private_segment_buffer 1
		.amdhsa_user_sgpr_dispatch_ptr 0
		.amdhsa_user_sgpr_queue_ptr 0
		.amdhsa_user_sgpr_kernarg_segment_ptr 1
		.amdhsa_user_sgpr_dispatch_id 0
		.amdhsa_user_sgpr_flat_scratch_init 0
		.amdhsa_user_sgpr_kernarg_preload_length 0
		.amdhsa_user_sgpr_kernarg_preload_offset 0
		.amdhsa_user_sgpr_private_segment_size 0
		.amdhsa_uses_dynamic_stack 0
		.amdhsa_system_sgpr_private_segment_wavefront_offset 0
		.amdhsa_system_sgpr_workgroup_id_x 1
		.amdhsa_system_sgpr_workgroup_id_y 0
		.amdhsa_system_sgpr_workgroup_id_z 0
		.amdhsa_system_sgpr_workgroup_info 0
		.amdhsa_system_vgpr_workitem_id 0
		.amdhsa_next_free_vgpr 71
		.amdhsa_next_free_sgpr 46
		.amdhsa_accum_offset 72
		.amdhsa_reserve_vcc 1
		.amdhsa_reserve_flat_scratch 0
		.amdhsa_float_round_mode_32 0
		.amdhsa_float_round_mode_16_64 0
		.amdhsa_float_denorm_mode_32 3
		.amdhsa_float_denorm_mode_16_64 3
		.amdhsa_dx10_clamp 1
		.amdhsa_ieee_mode 1
		.amdhsa_fp16_overflow 0
		.amdhsa_tg_split 0
		.amdhsa_exception_fp_ieee_invalid_op 0
		.amdhsa_exception_fp_denorm_src 0
		.amdhsa_exception_fp_ieee_div_zero 0
		.amdhsa_exception_fp_ieee_overflow 0
		.amdhsa_exception_fp_ieee_underflow 0
		.amdhsa_exception_fp_ieee_inexact 0
		.amdhsa_exception_int_div_zero 0
	.end_amdhsa_kernel
	.section	.text._ZN4vllm35static_scaled_int8_azp_quant_kernelIN3c104HalfEfiEEvPKT_PaPKT0_PKT1_i,"axG",@progbits,_ZN4vllm35static_scaled_int8_azp_quant_kernelIN3c104HalfEfiEEvPKT_PaPKT0_PKT1_i,comdat
.Lfunc_end3:
	.size	_ZN4vllm35static_scaled_int8_azp_quant_kernelIN3c104HalfEfiEEvPKT_PaPKT0_PKT1_i, .Lfunc_end3-_ZN4vllm35static_scaled_int8_azp_quant_kernelIN3c104HalfEfiEEvPKT_PaPKT0_PKT1_i
                                        ; -- End function
	.section	.AMDGPU.csdata,"",@progbits
; Kernel info:
; codeLenInByte = 15484
; NumSgprs: 50
; NumVgprs: 71
; NumAgprs: 0
; TotalNumVgprs: 71
; ScratchSize: 0
; MemoryBound: 0
; FloatMode: 240
; IeeeMode: 1
; LDSByteSize: 0 bytes/workgroup (compile time only)
; SGPRBlocks: 6
; VGPRBlocks: 8
; NumSGPRsForWavesPerEU: 50
; NumVGPRsForWavesPerEU: 71
; AccumOffset: 72
; Occupancy: 7
; WaveLimiterHint : 0
; COMPUTE_PGM_RSRC2:SCRATCH_EN: 0
; COMPUTE_PGM_RSRC2:USER_SGPR: 6
; COMPUTE_PGM_RSRC2:TRAP_HANDLER: 0
; COMPUTE_PGM_RSRC2:TGID_X_EN: 1
; COMPUTE_PGM_RSRC2:TGID_Y_EN: 0
; COMPUTE_PGM_RSRC2:TGID_Z_EN: 0
; COMPUTE_PGM_RSRC2:TIDIG_COMP_CNT: 0
; COMPUTE_PGM_RSRC3_GFX90A:ACCUM_OFFSET: 17
; COMPUTE_PGM_RSRC3_GFX90A:TG_SPLIT: 0
	.section	.text._ZN4vllm31static_scaled_int8_quant_kernelIN3c108BFloat16EfEEvPKT_PaPKT0_i,"axG",@progbits,_ZN4vllm31static_scaled_int8_quant_kernelIN3c108BFloat16EfEEvPKT_PaPKT0_i,comdat
	.protected	_ZN4vllm31static_scaled_int8_quant_kernelIN3c108BFloat16EfEEvPKT_PaPKT0_i ; -- Begin function _ZN4vllm31static_scaled_int8_quant_kernelIN3c108BFloat16EfEEvPKT_PaPKT0_i
	.globl	_ZN4vllm31static_scaled_int8_quant_kernelIN3c108BFloat16EfEEvPKT_PaPKT0_i
	.p2align	8
	.type	_ZN4vllm31static_scaled_int8_quant_kernelIN3c108BFloat16EfEEvPKT_PaPKT0_i,@function
_ZN4vllm31static_scaled_int8_quant_kernelIN3c108BFloat16EfEEvPKT_PaPKT0_i: ; @_ZN4vllm31static_scaled_int8_quant_kernelIN3c108BFloat16EfEEvPKT_PaPKT0_i
; %bb.0:
	s_load_dword s26, s[4:5], 0x18
	s_load_dword s2, s[4:5], 0x2c
	s_load_dwordx2 s[0:1], s[4:5], 0x10
	s_load_dwordx4 s[8:11], s[4:5], 0x0
	s_waitcnt lgkmcnt(0)
	s_ashr_i32 s3, s26, 31
	s_mul_i32 s3, s3, s6
	s_load_dword s25, s[0:1], 0x0
	s_mul_hi_u32 s0, s26, s6
	s_add_i32 s13, s0, s3
	s_mul_i32 s12, s26, s6
	s_and_b32 s24, s2, 0xffff
	s_lshl_b64 s[6:7], s[12:13], 1
	s_add_u32 s27, s8, s6
	s_addc_u32 s28, s9, s7
	s_and_b32 s0, s27, 31
	s_mov_b32 s1, 0
	s_cmp_lg_u64 s[0:1], 0
	s_cselect_b64 s[0:1], -1, 0
	s_and_b32 s2, s26, 15
	s_cmp_lg_u32 s2, 0
	s_cselect_b64 s[2:3], -1, 0
	s_or_b64 s[2:3], s[2:3], s[0:1]
	s_mov_b64 s[0:1], -1
	s_and_b64 vcc, exec, s[2:3]
	s_cbranch_vccz .LBB4_21
; %bb.1:
	s_add_u32 s16, s10, s12
	s_addc_u32 s17, s11, s13
	s_sub_i32 s0, 0, s27
	v_cvt_f32_u32_e32 v1, s24
	s_bfe_u32 s0, s0, 0x40001
	s_min_i32 s14, s0, s26
	v_cmp_gt_i32_e32 vcc, s14, v0
	s_and_saveexec_b64 s[18:19], vcc
	s_cbranch_execz .LBB4_9
; %bb.2:
	v_rcp_iflag_f32_e32 v2, v1
	v_add_u32_e32 v3, s24, v0
	v_mov_b32_e32 v4, s24
	v_cmp_gt_i32_e32 vcc, s14, v3
	v_mul_f32_e32 v2, 0x4f7ffffe, v2
	v_cvt_u32_f32_e32 v2, v2
	v_max_i32_e32 v5, s14, v3
	v_addc_co_u32_e64 v3, s[0:1], v0, v4, vcc
	s_sub_i32 s0, 0, s24
	v_mul_lo_u32 v4, s0, v2
	v_mul_hi_u32 v4, v2, v4
	v_sub_u32_e32 v3, v5, v3
	v_add_u32_e32 v2, v2, v4
	v_mul_hi_u32 v2, v3, v2
	v_mul_lo_u32 v4, v2, s24
	v_sub_u32_e32 v3, v3, v4
	v_add_u32_e32 v4, 1, v2
	v_cmp_le_u32_e64 s[0:1], s24, v3
	v_cndmask_b32_e64 v2, v2, v4, s[0:1]
	v_subrev_u32_e32 v4, s24, v3
	v_cndmask_b32_e64 v3, v3, v4, s[0:1]
	v_add_u32_e32 v4, 1, v2
	v_cmp_le_u32_e64 s[0:1], s24, v3
	v_cndmask_b32_e64 v2, v2, v4, s[0:1]
	v_addc_co_u32_e32 v4, vcc, 1, v2, vcc
	s_cmp_eq_u32 s24, 1
	v_cmp_lt_u32_e32 vcc, 3, v4
	s_cselect_b64 s[0:1], -1, 0
	s_and_b64 s[2:3], vcc, s[0:1]
	s_mov_b64 s[0:1], -1
	v_mov_b32_e32 v2, v0
	s_and_saveexec_b64 s[20:21], s[2:3]
	s_cbranch_execz .LBB4_6
; %bb.3:
	v_and_b32_e32 v5, -4, v4
	s_waitcnt lgkmcnt(0)
	s_mov_b32 s15, s25
	s_mov_b32 s29, s25
	;; [unrolled: 1-line block ×3, first 2 shown]
	s_mov_b64 s[22:23], 0
	v_mov_b32_e32 v3, 0
	v_mov_b32_e32 v6, s28
	s_mov_b32 s31, 0x42fe0000
	v_mov_b32_e32 v7, 0x42fe0000
	s_mov_b32 s33, 0xc3000000
	v_mov_b32_e32 v8, 0xc3000000
	v_mov_b32_e32 v2, v0
	;; [unrolled: 1-line block ×3, first 2 shown]
.LBB4_4:                                ; =>This Inner Loop Header: Depth=1
	v_lshlrev_b64 v[10:11], 1, v[2:3]
	v_add_co_u32_e32 v10, vcc, s27, v10
	v_addc_co_u32_e32 v11, vcc, v6, v11, vcc
	global_load_dwordx2 v[10:11], v[10:11], off
	v_add_u32_e32 v9, -4, v9
	s_waitcnt vmcnt(0)
	v_lshlrev_b32_e32 v13, 16, v10
	v_and_b32_e32 v10, 0xffff0000, v10
	v_div_scale_f32 v14, s[0:1], s15, s15, v10
	v_lshlrev_b32_e32 v12, 16, v11
	v_and_b32_e32 v11, 0xffff0000, v11
	v_div_scale_f32 v16, s[0:1], s25, s25, v13
	v_rcp_f32_e32 v22, v14
	v_div_scale_f32 v18, s[2:3], s30, s30, v11
	v_rcp_f32_e32 v23, v16
	;; [unrolled: 2-line block ×3, first 2 shown]
	v_rcp_f32_e32 v25, v20
	v_fma_f32 v26, -v14, v22, 1.0
	v_div_scale_f32 v15, vcc, v10, s15, v10
	v_fma_f32 v27, -v16, v23, 1.0
	v_fmac_f32_e32 v22, v26, v22
	v_div_scale_f32 v17, s[0:1], v13, s25, v13
	v_fma_f32 v28, -v18, v24, 1.0
	v_fmac_f32_e32 v23, v27, v23
	v_mul_f32_e32 v26, v15, v22
	v_div_scale_f32 v19, s[2:3], v11, s30, v11
	v_fma_f32 v29, -v20, v25, 1.0
	v_fmac_f32_e32 v24, v28, v24
	v_mul_f32_e32 v27, v17, v23
	v_fma_f32 v30, -v14, v26, v15
	v_div_scale_f32 v21, s[4:5], v12, s29, v12
	v_fmac_f32_e32 v25, v29, v25
	v_mul_f32_e32 v28, v19, v24
	v_fma_f32 v31, -v16, v27, v17
	v_fmac_f32_e32 v26, v30, v22
	v_mul_f32_e32 v29, v21, v25
	v_fma_f32 v32, -v18, v28, v19
	v_fmac_f32_e32 v27, v31, v23
	v_fma_f32 v14, -v14, v26, v15
	v_fma_f32 v33, -v20, v29, v21
	v_fmac_f32_e32 v28, v32, v24
	v_fma_f32 v15, -v16, v27, v17
	v_div_fmas_f32 v14, v14, v22, v26
	s_mov_b64 vcc, s[0:1]
	v_fmac_f32_e32 v29, v33, v25
	v_fma_f32 v16, -v18, v28, v19
	v_div_fixup_f32 v10, v14, s15, v10
	v_div_fmas_f32 v14, v15, v23, v27
	s_mov_b64 vcc, s[2:3]
	v_fma_f32 v17, -v20, v29, v21
	v_div_fixup_f32 v13, v14, s25, v13
	v_div_fmas_f32 v14, v16, v24, v28
	v_rndne_f32_e32 v10, v10
	s_mov_b64 vcc, s[4:5]
	v_div_fixup_f32 v11, v14, s30, v11
	v_div_fmas_f32 v14, v17, v25, v29
	v_rndne_f32_e32 v13, v13
	v_cmp_nlt_f32_e32 vcc, s31, v10
	v_cndmask_b32_e32 v15, v7, v10, vcc
	v_cmp_nlt_f32_e32 vcc, s31, v13
	v_div_fixup_f32 v12, v14, s29, v12
	v_rndne_f32_e32 v11, v11
	v_cndmask_b32_e32 v14, v7, v13, vcc
	v_cmp_ngt_f32_e32 vcc, s33, v10
	v_cndmask_b32_e32 v10, v8, v15, vcc
	v_cmp_nlt_f32_e32 vcc, s31, v11
	v_rndne_f32_e32 v12, v12
	v_cndmask_b32_e32 v15, v7, v11, vcc
	v_cmp_ngt_f32_e32 vcc, s33, v13
	v_cndmask_b32_e32 v13, v8, v14, vcc
	v_cmp_nlt_f32_e32 vcc, s31, v12
	v_cndmask_b32_e32 v14, v7, v12, vcc
	v_cmp_ngt_f32_e32 vcc, s33, v11
	v_cndmask_b32_e32 v11, v8, v15, vcc
	v_cmp_ngt_f32_e32 vcc, s33, v12
	v_cndmask_b32_e32 v12, v8, v14, vcc
	v_cvt_i32_f32_sdwa v10, v10 dst_sel:BYTE_1 dst_unused:UNUSED_PAD src0_sel:DWORD
	v_cvt_i32_f32_e32 v13, v13
	v_cvt_i32_f32_sdwa v11, v11 dst_sel:BYTE_1 dst_unused:UNUSED_PAD src0_sel:DWORD
	v_cvt_i32_f32_e32 v12, v12
	v_cmp_eq_u32_e32 vcc, 0, v9
	v_or_b32_sdwa v10, v13, v10 dst_sel:DWORD dst_unused:UNUSED_PAD src0_sel:BYTE_0 src1_sel:DWORD
	s_or_b64 s[22:23], vcc, s[22:23]
	v_or_b32_sdwa v11, v12, v11 dst_sel:WORD_1 dst_unused:UNUSED_PAD src0_sel:BYTE_0 src1_sel:DWORD
	v_or_b32_sdwa v10, v10, v11 dst_sel:DWORD dst_unused:UNUSED_PAD src0_sel:WORD_0 src1_sel:DWORD
	global_store_dword v2, v10, s[16:17]
	v_add_u32_e32 v2, 4, v2
	s_andn2_b64 exec, exec, s[22:23]
	s_cbranch_execnz .LBB4_4
; %bb.5:
	s_or_b64 exec, exec, s[22:23]
	v_cmp_ne_u32_e32 vcc, v4, v5
	v_add_u32_e32 v2, v0, v5
	s_orn2_b64 s[0:1], vcc, exec
.LBB4_6:
	s_or_b64 exec, exec, s[20:21]
	s_and_b64 exec, exec, s[0:1]
	s_cbranch_execz .LBB4_9
; %bb.7:
	v_mov_b32_e32 v3, 0
	s_add_u32 s1, s8, s6
	v_lshlrev_b64 v[4:5], 1, v[2:3]
	s_addc_u32 s2, s9, s7
	s_mov_b32 s0, 0
	v_mov_b32_e32 v6, s2
	v_add_co_u32_e32 v4, vcc, s1, v4
	v_addc_co_u32_e32 v5, vcc, v6, v5, vcc
	s_lshl_b32 s4, s24, 1
	s_mov_b64 s[2:3], 0
	v_mov_b32_e32 v6, s17
	s_mov_b32 s5, 0x42fe0000
	v_mov_b32_e32 v7, 0x42fe0000
	s_mov_b32 s15, 0xc3000000
	v_mov_b32_e32 v8, 0xc3000000
	v_mov_b32_e32 v9, s0
	;; [unrolled: 1-line block ×3, first 2 shown]
.LBB4_8:                                ; =>This Inner Loop Header: Depth=1
	global_load_ushort v11, v[4:5], off
	v_add_co_u32_e32 v12, vcc, s16, v2
	v_addc_co_u32_e32 v13, vcc, v6, v3, vcc
	v_add_co_u32_e32 v2, vcc, s24, v2
	v_addc_co_u32_e32 v3, vcc, v3, v9, vcc
	v_add_co_u32_e64 v4, s[0:1], s4, v4
	s_waitcnt vmcnt(0)
	v_lshlrev_b32_e32 v11, 16, v11
	s_waitcnt lgkmcnt(0)
	v_div_scale_f32 v14, s[20:21], s25, s25, v11
	v_rcp_f32_e32 v16, v14
	v_div_scale_f32 v15, vcc, v11, s25, v11
	v_fma_f32 v17, -v14, v16, 1.0
	v_fmac_f32_e32 v16, v17, v16
	v_mul_f32_e32 v17, v15, v16
	v_fma_f32 v18, -v14, v17, v15
	v_fmac_f32_e32 v17, v18, v16
	v_fma_f32 v14, -v14, v17, v15
	v_div_fmas_f32 v14, v14, v16, v17
	v_div_fixup_f32 v11, v14, s25, v11
	v_rndne_f32_e32 v11, v11
	v_cmp_nlt_f32_e32 vcc, s5, v11
	v_cndmask_b32_e32 v14, v7, v11, vcc
	v_cmp_ngt_f32_e32 vcc, s15, v11
	v_cndmask_b32_e32 v11, v8, v14, vcc
	v_cvt_i32_f32_e32 v11, v11
	v_addc_co_u32_e64 v5, vcc, v5, v10, s[0:1]
	v_cmp_le_i32_e32 vcc, s14, v2
	s_or_b64 s[2:3], vcc, s[2:3]
	global_store_byte v[12:13], v11, off
	s_andn2_b64 exec, exec, s[2:3]
	s_cbranch_execnz .LBB4_8
.LBB4_9:
	s_or_b64 exec, exec, s[18:19]
	s_sub_i32 s22, s26, s14
	s_ashr_i32 s0, s22, 31
	s_lshr_b32 s0, s0, 28
	s_add_i32 s0, s22, s0
	s_ashr_i32 s4, s0, 4
	s_ashr_i32 s15, s14, 31
	v_cmp_gt_i32_e32 vcc, s4, v0
	s_and_saveexec_b64 s[0:1], vcc
	s_cbranch_execz .LBB4_12
; %bb.10:
	s_add_u32 s2, s14, s12
	s_addc_u32 s3, s15, s13
	s_add_u32 s2, s10, s2
	v_lshlrev_b32_e32 v2, 4, v0
	s_addc_u32 s3, s11, s3
	v_mov_b32_e32 v3, s3
	v_add_co_u32_e32 v10, vcc, s2, v2
	s_lshl_b32 s5, s24, 4
	s_lshl_b64 s[2:3], s[14:15], 1
	s_add_u32 s2, s8, s2
	s_addc_u32 s3, s9, s3
	s_add_u32 s2, s2, s6
	v_addc_co_u32_e32 v11, vcc, 0, v3, vcc
	v_lshlrev_b32_e32 v2, 5, v0
	s_addc_u32 s3, s3, s7
	s_mov_b32 s21, 0
	v_mov_b32_e32 v3, s3
	v_add_co_u32_e32 v12, vcc, s2, v2
	v_addc_co_u32_e32 v13, vcc, 0, v3, vcc
	s_lshl_b32 s18, s24, 5
	s_mov_b64 s[2:3], 0
	s_mov_b32 s19, 0x42fe0000
	v_mov_b32_e32 v14, 0x42fe0000
	s_mov_b32 s20, 0xc3000000
	v_mov_b32_e32 v15, 0xc3000000
	v_mov_b32_e32 v16, s21
	;; [unrolled: 1-line block ×4, first 2 shown]
.LBB4_11:                               ; =>This Inner Loop Header: Depth=1
	global_load_dwordx4 v[6:9], v[12:13], off
	global_load_dwordx4 v[2:5], v[12:13], off offset:16
	v_add_u32_e32 v18, s24, v18
	s_waitcnt vmcnt(1)
	v_lshlrev_b32_e32 v19, 16, v6
	s_waitcnt lgkmcnt(0)
	v_div_scale_f32 v20, s[30:31], s25, s25, v19
	v_rcp_f32_e32 v21, v20
	v_and_b32_e32 v6, 0xffff0000, v6
	v_fma_f32 v22, -v20, v21, 1.0
	v_fmac_f32_e32 v21, v22, v21
	v_div_scale_f32 v22, vcc, v19, s25, v19
	v_mul_f32_e32 v23, v22, v21
	v_fma_f32 v24, -v20, v23, v22
	v_fmac_f32_e32 v23, v24, v21
	v_fma_f32 v20, -v20, v23, v22
	v_div_fmas_f32 v20, v20, v21, v23
	v_div_fixup_f32 v19, v20, s25, v19
	v_rndne_f32_e32 v19, v19
	v_cmp_nlt_f32_e32 vcc, s19, v19
	v_cndmask_b32_e32 v20, v14, v19, vcc
	v_cmp_ngt_f32_e32 vcc, s20, v19
	v_cndmask_b32_e32 v19, v15, v20, vcc
	v_div_scale_f32 v20, s[30:31], s25, s25, v6
	v_rcp_f32_e32 v21, v20
	v_cvt_i32_f32_e32 v19, v19
	v_fma_f32 v22, -v20, v21, 1.0
	v_fmac_f32_e32 v21, v22, v21
	v_div_scale_f32 v22, vcc, v6, s25, v6
	v_mul_f32_e32 v23, v22, v21
	v_fma_f32 v24, -v20, v23, v22
	v_fmac_f32_e32 v23, v24, v21
	v_fma_f32 v20, -v20, v23, v22
	v_div_fmas_f32 v20, v20, v21, v23
	v_div_fixup_f32 v6, v20, s25, v6
	v_rndne_f32_e32 v6, v6
	v_cmp_nlt_f32_e32 vcc, s19, v6
	v_cndmask_b32_e32 v20, v14, v6, vcc
	v_cmp_ngt_f32_e32 vcc, s20, v6
	v_cndmask_b32_e32 v6, v15, v20, vcc
	v_lshlrev_b32_e32 v20, 16, v7
	v_div_scale_f32 v21, s[30:31], s25, s25, v20
	v_rcp_f32_e32 v22, v21
	v_and_b32_e32 v7, 0xffff0000, v7
	v_cvt_i32_f32_sdwa v6, v6 dst_sel:BYTE_1 dst_unused:UNUSED_PAD src0_sel:DWORD
	v_fma_f32 v23, -v21, v22, 1.0
	v_fmac_f32_e32 v22, v23, v22
	v_div_scale_f32 v23, vcc, v20, s25, v20
	v_mul_f32_e32 v24, v23, v22
	v_fma_f32 v25, -v21, v24, v23
	v_fmac_f32_e32 v24, v25, v22
	v_fma_f32 v21, -v21, v24, v23
	v_div_fmas_f32 v21, v21, v22, v24
	v_div_fixup_f32 v20, v21, s25, v20
	v_rndne_f32_e32 v20, v20
	v_cmp_nlt_f32_e32 vcc, s19, v20
	v_cndmask_b32_e32 v21, v14, v20, vcc
	v_cmp_ngt_f32_e32 vcc, s20, v20
	v_cndmask_b32_e32 v20, v15, v21, vcc
	v_div_scale_f32 v21, s[30:31], s25, s25, v7
	v_rcp_f32_e32 v22, v21
	v_cvt_i32_f32_e32 v20, v20
	v_fma_f32 v23, -v21, v22, 1.0
	v_fmac_f32_e32 v22, v23, v22
	v_div_scale_f32 v23, vcc, v7, s25, v7
	v_mul_f32_e32 v24, v23, v22
	v_fma_f32 v25, -v21, v24, v23
	v_fmac_f32_e32 v24, v25, v22
	v_fma_f32 v21, -v21, v24, v23
	v_div_fmas_f32 v21, v21, v22, v24
	v_div_fixup_f32 v7, v21, s25, v7
	v_rndne_f32_e32 v7, v7
	v_cmp_nlt_f32_e32 vcc, s19, v7
	v_cndmask_b32_e32 v21, v14, v7, vcc
	v_cmp_ngt_f32_e32 vcc, s20, v7
	v_cndmask_b32_e32 v7, v15, v21, vcc
	v_lshlrev_b32_e32 v21, 16, v8
	v_div_scale_f32 v22, s[30:31], s25, s25, v21
	v_rcp_f32_e32 v23, v22
	v_and_b32_e32 v8, 0xffff0000, v8
	v_cvt_i32_f32_sdwa v7, v7 dst_sel:BYTE_1 dst_unused:UNUSED_PAD src0_sel:DWORD
	;; [unrolled: 36-line block ×3, first 2 shown]
	v_fma_f32 v25, -v23, v24, 1.0
	v_fmac_f32_e32 v24, v25, v24
	v_div_scale_f32 v25, vcc, v22, s25, v22
	v_mul_f32_e32 v26, v25, v24
	v_fma_f32 v27, -v23, v26, v25
	v_fmac_f32_e32 v26, v27, v24
	v_fma_f32 v23, -v23, v26, v25
	v_div_fmas_f32 v23, v23, v24, v26
	v_div_fixup_f32 v22, v23, s25, v22
	v_rndne_f32_e32 v22, v22
	v_cmp_nlt_f32_e32 vcc, s19, v22
	v_cndmask_b32_e32 v23, v14, v22, vcc
	v_cmp_ngt_f32_e32 vcc, s20, v22
	v_cndmask_b32_e32 v22, v15, v23, vcc
	v_div_scale_f32 v23, s[30:31], s25, s25, v9
	v_rcp_f32_e32 v24, v23
	v_cvt_i32_f32_e32 v22, v22
	v_fma_f32 v25, -v23, v24, 1.0
	v_fmac_f32_e32 v24, v25, v24
	v_div_scale_f32 v25, vcc, v9, s25, v9
	v_mul_f32_e32 v26, v25, v24
	v_fma_f32 v27, -v23, v26, v25
	v_fmac_f32_e32 v26, v27, v24
	v_fma_f32 v23, -v23, v26, v25
	v_div_fmas_f32 v23, v23, v24, v26
	v_div_fixup_f32 v9, v23, s25, v9
	v_rndne_f32_e32 v9, v9
	v_cmp_nlt_f32_e32 vcc, s19, v9
	v_cndmask_b32_e32 v23, v14, v9, vcc
	v_cmp_ngt_f32_e32 vcc, s20, v9
	v_cndmask_b32_e32 v9, v15, v23, vcc
	s_waitcnt vmcnt(0)
	v_lshlrev_b32_e32 v23, 16, v2
	v_div_scale_f32 v24, s[30:31], s25, s25, v23
	v_rcp_f32_e32 v25, v24
	v_and_b32_e32 v2, 0xffff0000, v2
	v_cvt_i32_f32_sdwa v9, v9 dst_sel:BYTE_1 dst_unused:UNUSED_PAD src0_sel:DWORD
	v_fma_f32 v26, -v24, v25, 1.0
	v_fmac_f32_e32 v25, v26, v25
	v_div_scale_f32 v26, vcc, v23, s25, v23
	v_mul_f32_e32 v27, v26, v25
	v_fma_f32 v28, -v24, v27, v26
	v_fmac_f32_e32 v27, v28, v25
	v_fma_f32 v24, -v24, v27, v26
	v_div_fmas_f32 v24, v24, v25, v27
	v_div_fixup_f32 v23, v24, s25, v23
	v_rndne_f32_e32 v23, v23
	v_cmp_nlt_f32_e32 vcc, s19, v23
	v_cndmask_b32_e32 v24, v14, v23, vcc
	v_cmp_ngt_f32_e32 vcc, s20, v23
	v_cndmask_b32_e32 v23, v15, v24, vcc
	v_div_scale_f32 v24, s[30:31], s25, s25, v2
	v_rcp_f32_e32 v25, v24
	v_cvt_i32_f32_e32 v23, v23
	v_fma_f32 v26, -v24, v25, 1.0
	v_fmac_f32_e32 v25, v26, v25
	v_div_scale_f32 v26, vcc, v2, s25, v2
	v_mul_f32_e32 v27, v26, v25
	v_fma_f32 v28, -v24, v27, v26
	v_fmac_f32_e32 v27, v28, v25
	v_fma_f32 v24, -v24, v27, v26
	v_div_fmas_f32 v24, v24, v25, v27
	v_div_fixup_f32 v2, v24, s25, v2
	v_rndne_f32_e32 v2, v2
	v_cmp_nlt_f32_e32 vcc, s19, v2
	v_cndmask_b32_e32 v24, v14, v2, vcc
	v_cmp_ngt_f32_e32 vcc, s20, v2
	v_cndmask_b32_e32 v2, v15, v24, vcc
	v_lshlrev_b32_e32 v24, 16, v3
	v_div_scale_f32 v25, s[30:31], s25, s25, v24
	v_rcp_f32_e32 v26, v25
	v_and_b32_e32 v3, 0xffff0000, v3
	v_cvt_i32_f32_sdwa v2, v2 dst_sel:BYTE_1 dst_unused:UNUSED_PAD src0_sel:DWORD
	v_fma_f32 v27, -v25, v26, 1.0
	v_fmac_f32_e32 v26, v27, v26
	v_div_scale_f32 v27, vcc, v24, s25, v24
	v_mul_f32_e32 v28, v27, v26
	v_fma_f32 v29, -v25, v28, v27
	v_fmac_f32_e32 v28, v29, v26
	v_fma_f32 v25, -v25, v28, v27
	v_div_fmas_f32 v25, v25, v26, v28
	v_div_fixup_f32 v24, v25, s25, v24
	v_rndne_f32_e32 v24, v24
	v_cmp_nlt_f32_e32 vcc, s19, v24
	v_cndmask_b32_e32 v25, v14, v24, vcc
	v_cmp_ngt_f32_e32 vcc, s20, v24
	v_cndmask_b32_e32 v24, v15, v25, vcc
	v_div_scale_f32 v25, s[30:31], s25, s25, v3
	v_rcp_f32_e32 v26, v25
	v_cvt_i32_f32_e32 v24, v24
	v_or_b32_sdwa v2, v23, v2 dst_sel:DWORD dst_unused:UNUSED_PAD src0_sel:BYTE_0 src1_sel:DWORD
	v_fma_f32 v27, -v25, v26, 1.0
	v_fmac_f32_e32 v26, v27, v26
	v_div_scale_f32 v27, vcc, v3, s25, v3
	v_mul_f32_e32 v28, v27, v26
	v_fma_f32 v29, -v25, v28, v27
	v_fmac_f32_e32 v28, v29, v26
	v_fma_f32 v25, -v25, v28, v27
	v_div_fmas_f32 v25, v25, v26, v28
	v_div_fixup_f32 v3, v25, s25, v3
	v_rndne_f32_e32 v3, v3
	v_cmp_nlt_f32_e32 vcc, s19, v3
	v_cndmask_b32_e32 v25, v14, v3, vcc
	v_cmp_ngt_f32_e32 vcc, s20, v3
	v_cndmask_b32_e32 v3, v15, v25, vcc
	v_lshlrev_b32_e32 v25, 16, v4
	v_div_scale_f32 v26, s[30:31], s25, s25, v25
	v_rcp_f32_e32 v27, v26
	v_and_b32_e32 v4, 0xffff0000, v4
	v_cvt_i32_f32_sdwa v3, v3 dst_sel:BYTE_1 dst_unused:UNUSED_PAD src0_sel:DWORD
	v_fma_f32 v28, -v26, v27, 1.0
	v_fmac_f32_e32 v27, v28, v27
	v_div_scale_f32 v28, vcc, v25, s25, v25
	v_mul_f32_e32 v29, v28, v27
	v_fma_f32 v30, -v26, v29, v28
	v_fmac_f32_e32 v29, v30, v27
	v_fma_f32 v26, -v26, v29, v28
	v_div_fmas_f32 v26, v26, v27, v29
	v_div_fixup_f32 v25, v26, s25, v25
	v_rndne_f32_e32 v25, v25
	v_cmp_nlt_f32_e32 vcc, s19, v25
	v_cndmask_b32_e32 v26, v14, v25, vcc
	v_cmp_ngt_f32_e32 vcc, s20, v25
	v_cndmask_b32_e32 v25, v15, v26, vcc
	v_div_scale_f32 v26, s[30:31], s25, s25, v4
	v_rcp_f32_e32 v27, v26
	v_cvt_i32_f32_e32 v25, v25
	v_or_b32_sdwa v3, v24, v3 dst_sel:WORD_1 dst_unused:UNUSED_PAD src0_sel:BYTE_0 src1_sel:DWORD
	v_fma_f32 v28, -v26, v27, 1.0
	v_fmac_f32_e32 v27, v28, v27
	v_div_scale_f32 v28, vcc, v4, s25, v4
	v_mul_f32_e32 v29, v28, v27
	v_fma_f32 v30, -v26, v29, v28
	v_fmac_f32_e32 v29, v30, v27
	v_fma_f32 v26, -v26, v29, v28
	v_div_fmas_f32 v26, v26, v27, v29
	v_div_fixup_f32 v4, v26, s25, v4
	v_rndne_f32_e32 v4, v4
	v_cmp_nlt_f32_e32 vcc, s19, v4
	v_cndmask_b32_e32 v26, v14, v4, vcc
	v_cmp_ngt_f32_e32 vcc, s20, v4
	v_cndmask_b32_e32 v4, v15, v26, vcc
	v_lshlrev_b32_e32 v26, 16, v5
	v_div_scale_f32 v27, s[30:31], s25, s25, v26
	v_rcp_f32_e32 v28, v27
	v_and_b32_e32 v5, 0xffff0000, v5
	v_cvt_i32_f32_sdwa v4, v4 dst_sel:BYTE_1 dst_unused:UNUSED_PAD src0_sel:DWORD
	v_fma_f32 v29, -v27, v28, 1.0
	v_fmac_f32_e32 v28, v29, v28
	v_div_scale_f32 v29, vcc, v26, s25, v26
	v_mul_f32_e32 v30, v29, v28
	v_fma_f32 v31, -v27, v30, v29
	v_fmac_f32_e32 v30, v31, v28
	v_fma_f32 v27, -v27, v30, v29
	v_div_fmas_f32 v27, v27, v28, v30
	v_div_fixup_f32 v26, v27, s25, v26
	v_rndne_f32_e32 v26, v26
	v_cmp_nlt_f32_e32 vcc, s19, v26
	v_cndmask_b32_e32 v27, v14, v26, vcc
	v_cmp_ngt_f32_e32 vcc, s20, v26
	v_cndmask_b32_e32 v26, v15, v27, vcc
	v_div_scale_f32 v27, s[30:31], s25, s25, v5
	v_rcp_f32_e32 v28, v27
	v_cvt_i32_f32_e32 v26, v26
	v_or_b32_sdwa v4, v25, v4 dst_sel:DWORD dst_unused:UNUSED_PAD src0_sel:BYTE_0 src1_sel:DWORD
	v_fma_f32 v29, -v27, v28, 1.0
	v_fmac_f32_e32 v28, v29, v28
	v_div_scale_f32 v29, vcc, v5, s25, v5
	v_mul_f32_e32 v30, v29, v28
	v_fma_f32 v31, -v27, v30, v29
	v_fmac_f32_e32 v30, v31, v28
	v_fma_f32 v27, -v27, v30, v29
	v_div_fmas_f32 v27, v27, v28, v30
	v_div_fixup_f32 v5, v27, s25, v5
	v_rndne_f32_e32 v5, v5
	v_cmp_nlt_f32_e32 vcc, s19, v5
	v_cndmask_b32_e32 v27, v14, v5, vcc
	v_cmp_ngt_f32_e32 vcc, s20, v5
	v_cndmask_b32_e32 v5, v15, v27, vcc
	v_cvt_i32_f32_sdwa v5, v5 dst_sel:BYTE_1 dst_unused:UNUSED_PAD src0_sel:DWORD
	v_or_b32_sdwa v5, v26, v5 dst_sel:WORD_1 dst_unused:UNUSED_PAD src0_sel:BYTE_0 src1_sel:DWORD
	v_or_b32_sdwa v5, v4, v5 dst_sel:DWORD dst_unused:UNUSED_PAD src0_sel:WORD_0 src1_sel:DWORD
	v_or_b32_sdwa v4, v2, v3 dst_sel:DWORD dst_unused:UNUSED_PAD src0_sel:WORD_0 src1_sel:DWORD
	v_or_b32_sdwa v2, v21, v8 dst_sel:DWORD dst_unused:UNUSED_PAD src0_sel:BYTE_0 src1_sel:DWORD
	v_or_b32_sdwa v3, v22, v9 dst_sel:WORD_1 dst_unused:UNUSED_PAD src0_sel:BYTE_0 src1_sel:DWORD
	v_or_b32_sdwa v3, v2, v3 dst_sel:DWORD dst_unused:UNUSED_PAD src0_sel:WORD_0 src1_sel:DWORD
	v_or_b32_sdwa v2, v19, v6 dst_sel:DWORD dst_unused:UNUSED_PAD src0_sel:BYTE_0 src1_sel:DWORD
	v_or_b32_sdwa v6, v20, v7 dst_sel:WORD_1 dst_unused:UNUSED_PAD src0_sel:BYTE_0 src1_sel:DWORD
	v_or_b32_sdwa v2, v2, v6 dst_sel:DWORD dst_unused:UNUSED_PAD src0_sel:WORD_0 src1_sel:DWORD
	global_store_dwordx4 v[10:11], v[2:5], off
	v_add_co_u32_e32 v10, vcc, s5, v10
	v_addc_co_u32_e32 v11, vcc, v11, v16, vcc
	v_add_co_u32_e32 v12, vcc, s18, v12
	v_addc_co_u32_e32 v13, vcc, v13, v17, vcc
	v_cmp_le_i32_e32 vcc, s4, v18
	s_or_b64 s[2:3], vcc, s[2:3]
	s_andn2_b64 exec, exec, s[2:3]
	s_cbranch_execnz .LBB4_11
.LBB4_12:
	s_or_b64 exec, exec, s[0:1]
	v_lshl_add_u32 v2, s4, 4, v0
	v_cmp_gt_i32_e32 vcc, s22, v2
	s_and_saveexec_b64 s[18:19], vcc
	s_cbranch_execz .LBB4_20
; %bb.13:
	v_rcp_iflag_f32_e32 v1, v1
	v_add_u32_e32 v3, s24, v2
	v_mov_b32_e32 v5, s24
	v_cmp_gt_i32_e32 vcc, s22, v3
	v_mul_f32_e32 v1, 0x4f7ffffe, v1
	v_cvt_u32_f32_e32 v1, v1
	s_add_u32 s23, s16, s14
	v_max_i32_e32 v4, s22, v3
	v_addc_co_u32_e64 v3, s[0:1], v2, v5, vcc
	s_addc_u32 s29, s17, s15
	s_sub_i32 s0, 0, s24
	v_sub_u32_e32 v3, v4, v3
	v_mul_lo_u32 v4, s0, v1
	v_mul_hi_u32 v4, v1, v4
	v_add_u32_e32 v1, v1, v4
	v_mul_hi_u32 v1, v3, v1
	v_mul_lo_u32 v4, v1, s24
	v_sub_u32_e32 v3, v3, v4
	v_add_u32_e32 v4, 1, v1
	v_cmp_le_u32_e64 s[0:1], s24, v3
	v_cndmask_b32_e64 v1, v1, v4, s[0:1]
	v_subrev_u32_e32 v4, s24, v3
	v_cndmask_b32_e64 v3, v3, v4, s[0:1]
	v_add_u32_e32 v4, 1, v1
	v_cmp_le_u32_e64 s[0:1], s24, v3
	v_cndmask_b32_e64 v1, v1, v4, s[0:1]
	v_addc_co_u32_e32 v1, vcc, 1, v1, vcc
	s_cmp_eq_u32 s24, 1
	v_cmp_lt_u32_e32 vcc, 3, v1
	s_cselect_b64 s[0:1], -1, 0
	s_and_b64 s[2:3], vcc, s[0:1]
	s_mov_b64 s[0:1], -1
	s_and_saveexec_b64 s[16:17], s[2:3]
	s_cbranch_execz .LBB4_17
; %bb.14:
	s_lshl_b64 s[0:1], s[14:15], 1
	s_add_u32 s27, s27, s0
	s_addc_u32 s0, s28, s1
	v_and_b32_e32 v3, -4, v1
	s_waitcnt lgkmcnt(0)
	s_mov_b32 s28, s25
	s_mov_b32 s30, s25
	;; [unrolled: 1-line block ×3, first 2 shown]
	s_mov_b64 s[20:21], 0
	v_mov_b32_e32 v6, s29
	v_mov_b32_e32 v7, s0
	s_mov_b32 s33, 0x42fe0000
	v_mov_b32_e32 v8, 0x42fe0000
	s_mov_b32 s34, 0xc3000000
	v_mov_b32_e32 v9, 0xc3000000
	v_mov_b32_e32 v4, v2
	;; [unrolled: 1-line block ×3, first 2 shown]
.LBB4_15:                               ; =>This Inner Loop Header: Depth=1
	v_ashrrev_i32_e32 v5, 31, v4
	v_lshlrev_b64 v[12:13], 1, v[4:5]
	v_add_co_u32_e32 v12, vcc, s27, v12
	v_addc_co_u32_e32 v13, vcc, v7, v13, vcc
	global_load_dwordx2 v[12:13], v[12:13], off
	v_add_co_u32_e32 v14, vcc, s23, v4
	v_addc_co_u32_e32 v15, vcc, v6, v5, vcc
	v_add_u32_e32 v10, -4, v10
	v_add_u32_e32 v4, 4, v4
	s_waitcnt vmcnt(0)
	v_lshlrev_b32_e32 v5, 16, v13
	v_and_b32_e32 v11, 0xffff0000, v13
	v_lshlrev_b32_e32 v13, 16, v12
	v_and_b32_e32 v12, 0xffff0000, v12
	v_div_scale_f32 v16, s[0:1], s28, s28, v12
	v_div_scale_f32 v18, s[0:1], s25, s25, v13
	v_rcp_f32_e32 v24, v16
	v_div_scale_f32 v20, s[2:3], s31, s31, v11
	v_rcp_f32_e32 v25, v18
	;; [unrolled: 2-line block ×3, first 2 shown]
	v_rcp_f32_e32 v27, v22
	v_fma_f32 v28, -v16, v24, 1.0
	v_div_scale_f32 v17, vcc, v12, s28, v12
	v_fma_f32 v29, -v18, v25, 1.0
	v_fmac_f32_e32 v24, v28, v24
	v_div_scale_f32 v19, s[0:1], v13, s25, v13
	v_fma_f32 v30, -v20, v26, 1.0
	v_fmac_f32_e32 v25, v29, v25
	v_mul_f32_e32 v28, v17, v24
	v_div_scale_f32 v21, s[2:3], v11, s31, v11
	v_fma_f32 v31, -v22, v27, 1.0
	v_fmac_f32_e32 v26, v30, v26
	v_mul_f32_e32 v29, v19, v25
	v_fma_f32 v32, -v16, v28, v17
	v_div_scale_f32 v23, s[4:5], v5, s30, v5
	v_fmac_f32_e32 v27, v31, v27
	v_mul_f32_e32 v30, v21, v26
	v_fma_f32 v33, -v18, v29, v19
	v_fmac_f32_e32 v28, v32, v24
	v_mul_f32_e32 v31, v23, v27
	v_fma_f32 v34, -v20, v30, v21
	v_fmac_f32_e32 v29, v33, v25
	v_fma_f32 v16, -v16, v28, v17
	v_fma_f32 v35, -v22, v31, v23
	v_fmac_f32_e32 v30, v34, v26
	v_fma_f32 v17, -v18, v29, v19
	v_div_fmas_f32 v16, v16, v24, v28
	s_mov_b64 vcc, s[0:1]
	v_fmac_f32_e32 v31, v35, v27
	v_fma_f32 v18, -v20, v30, v21
	v_div_fixup_f32 v12, v16, s28, v12
	v_div_fmas_f32 v16, v17, v25, v29
	s_mov_b64 vcc, s[2:3]
	v_fma_f32 v19, -v22, v31, v23
	v_div_fixup_f32 v13, v16, s25, v13
	v_div_fmas_f32 v16, v18, v26, v30
	v_rndne_f32_e32 v12, v12
	s_mov_b64 vcc, s[4:5]
	v_div_fixup_f32 v11, v16, s31, v11
	v_div_fmas_f32 v16, v19, v27, v31
	v_rndne_f32_e32 v13, v13
	v_cmp_nlt_f32_e32 vcc, s33, v12
	v_cndmask_b32_e32 v17, v8, v12, vcc
	v_cmp_nlt_f32_e32 vcc, s33, v13
	v_div_fixup_f32 v5, v16, s30, v5
	v_rndne_f32_e32 v11, v11
	v_cndmask_b32_e32 v16, v8, v13, vcc
	v_cmp_ngt_f32_e32 vcc, s34, v12
	v_cndmask_b32_e32 v12, v9, v17, vcc
	v_cmp_nlt_f32_e32 vcc, s33, v11
	v_rndne_f32_e32 v5, v5
	v_cndmask_b32_e32 v17, v8, v11, vcc
	v_cmp_ngt_f32_e32 vcc, s34, v13
	v_cndmask_b32_e32 v13, v9, v16, vcc
	v_cmp_nlt_f32_e32 vcc, s33, v5
	v_cndmask_b32_e32 v16, v8, v5, vcc
	v_cmp_ngt_f32_e32 vcc, s34, v11
	v_cndmask_b32_e32 v11, v9, v17, vcc
	v_cmp_ngt_f32_e32 vcc, s34, v5
	v_cndmask_b32_e32 v5, v9, v16, vcc
	v_cvt_i32_f32_sdwa v12, v12 dst_sel:BYTE_1 dst_unused:UNUSED_PAD src0_sel:DWORD
	v_cvt_i32_f32_e32 v13, v13
	v_cvt_i32_f32_sdwa v11, v11 dst_sel:BYTE_1 dst_unused:UNUSED_PAD src0_sel:DWORD
	v_cvt_i32_f32_e32 v5, v5
	v_cmp_eq_u32_e32 vcc, 0, v10
	v_or_b32_sdwa v12, v13, v12 dst_sel:DWORD dst_unused:UNUSED_PAD src0_sel:BYTE_0 src1_sel:DWORD
	s_or_b64 s[20:21], vcc, s[20:21]
	v_or_b32_sdwa v5, v5, v11 dst_sel:WORD_1 dst_unused:UNUSED_PAD src0_sel:BYTE_0 src1_sel:DWORD
	v_or_b32_sdwa v5, v12, v5 dst_sel:DWORD dst_unused:UNUSED_PAD src0_sel:WORD_0 src1_sel:DWORD
	global_store_dword v[14:15], v5, off
	s_andn2_b64 exec, exec, s[20:21]
	s_cbranch_execnz .LBB4_15
; %bb.16:
	s_or_b64 exec, exec, s[20:21]
	v_cmp_ne_u32_e32 vcc, v1, v3
	v_add_u32_e32 v2, v2, v3
	s_orn2_b64 s[0:1], vcc, exec
.LBB4_17:
	s_or_b64 exec, exec, s[16:17]
	s_and_b64 exec, exec, s[0:1]
	s_cbranch_execz .LBB4_20
; %bb.18:
	s_lshl_b64 s[0:1], s[14:15], 1
	s_add_u32 s0, s6, s0
	s_addc_u32 s1, s7, s1
	v_ashrrev_i32_e32 v3, 31, v2
	s_add_u32 s0, s8, s0
	v_lshlrev_b64 v[4:5], 1, v[2:3]
	s_addc_u32 s1, s9, s1
	s_mov_b32 s16, 0
	v_mov_b32_e32 v1, s1
	v_add_co_u32_e32 v4, vcc, s0, v4
	v_addc_co_u32_e32 v5, vcc, v1, v5, vcc
	s_lshl_b32 s4, s24, 1
	s_mov_b64 s[2:3], 0
	v_mov_b32_e32 v1, s29
	s_mov_b32 s5, 0x42fe0000
	v_mov_b32_e32 v6, 0x42fe0000
	s_mov_b32 s14, 0xc3000000
	v_mov_b32_e32 v7, 0xc3000000
	v_mov_b32_e32 v8, s16
	;; [unrolled: 1-line block ×3, first 2 shown]
.LBB4_19:                               ; =>This Inner Loop Header: Depth=1
	global_load_ushort v12, v[4:5], off
	v_add_co_u32_e32 v10, vcc, s23, v2
	v_addc_co_u32_e32 v11, vcc, v1, v3, vcc
	v_add_co_u32_e32 v2, vcc, s24, v2
	v_addc_co_u32_e32 v3, vcc, v3, v8, vcc
	v_add_co_u32_e64 v4, s[0:1], s4, v4
	s_waitcnt vmcnt(0)
	v_lshlrev_b32_e32 v12, 16, v12
	s_waitcnt lgkmcnt(0)
	v_div_scale_f32 v13, s[16:17], s25, s25, v12
	v_rcp_f32_e32 v15, v13
	v_div_scale_f32 v14, vcc, v12, s25, v12
	v_fma_f32 v16, -v13, v15, 1.0
	v_fmac_f32_e32 v15, v16, v15
	v_mul_f32_e32 v16, v14, v15
	v_fma_f32 v17, -v13, v16, v14
	v_fmac_f32_e32 v16, v17, v15
	v_fma_f32 v13, -v13, v16, v14
	v_div_fmas_f32 v13, v13, v15, v16
	v_div_fixup_f32 v12, v13, s25, v12
	v_rndne_f32_e32 v12, v12
	v_cmp_nlt_f32_e32 vcc, s5, v12
	v_cndmask_b32_e32 v13, v6, v12, vcc
	v_cmp_ngt_f32_e32 vcc, s14, v12
	v_cndmask_b32_e32 v12, v7, v13, vcc
	v_cvt_i32_f32_e32 v12, v12
	v_addc_co_u32_e64 v5, vcc, v5, v9, s[0:1]
	v_cmp_le_i32_e32 vcc, s22, v2
	s_or_b64 s[2:3], vcc, s[2:3]
	global_store_byte v[10:11], v12, off
	s_andn2_b64 exec, exec, s[2:3]
	s_cbranch_execnz .LBB4_19
.LBB4_20:
	s_or_b64 exec, exec, s[18:19]
	s_mov_b64 s[0:1], 0
.LBB4_21:
	s_and_b64 vcc, exec, s[0:1]
	s_cbranch_vccz .LBB4_25
; %bb.22:
	s_ashr_i32 s2, s26, 4
	v_cmp_gt_i32_e32 vcc, s2, v0
	s_and_saveexec_b64 s[0:1], vcc
	s_cbranch_execz .LBB4_25
; %bb.23:
	s_add_u32 s0, s10, s12
	v_lshlrev_b32_e32 v1, 4, v0
	s_addc_u32 s1, s11, s13
	s_lshl_b32 s3, s24, 4
	v_mov_b32_e32 v2, s1
	v_add_co_u32_e32 v10, vcc, s0, v1
	s_add_u32 s0, s8, s6
	v_addc_co_u32_e32 v11, vcc, 0, v2, vcc
	v_lshlrev_b32_e32 v1, 5, v0
	s_addc_u32 s1, s9, s7
	s_mov_b32 s14, 0
	v_mov_b32_e32 v2, s1
	v_add_co_u32_e32 v12, vcc, s0, v1
	v_addc_co_u32_e32 v13, vcc, 0, v2, vcc
	s_lshl_b32 s4, s24, 5
	s_mov_b64 s[0:1], 0
	s_mov_b32 s5, 0x42fe0000
	v_mov_b32_e32 v1, 0x42fe0000
	s_mov_b32 s6, 0xc3000000
	v_mov_b32_e32 v14, 0xc3000000
	v_mov_b32_e32 v15, s14
	;; [unrolled: 1-line block ×3, first 2 shown]
.LBB4_24:                               ; =>This Inner Loop Header: Depth=1
	global_load_dwordx4 v[6:9], v[12:13], off
	global_load_dwordx4 v[2:5], v[12:13], off offset:16
	v_add_u32_e32 v0, s24, v0
	s_waitcnt vmcnt(1)
	v_lshlrev_b32_e32 v17, 16, v6
	s_waitcnt lgkmcnt(0)
	v_div_scale_f32 v18, s[8:9], s25, s25, v17
	v_rcp_f32_e32 v19, v18
	v_and_b32_e32 v6, 0xffff0000, v6
	v_fma_f32 v20, -v18, v19, 1.0
	v_fmac_f32_e32 v19, v20, v19
	v_div_scale_f32 v20, vcc, v17, s25, v17
	v_mul_f32_e32 v21, v20, v19
	v_fma_f32 v22, -v18, v21, v20
	v_fmac_f32_e32 v21, v22, v19
	v_fma_f32 v18, -v18, v21, v20
	v_div_fmas_f32 v18, v18, v19, v21
	v_div_fixup_f32 v17, v18, s25, v17
	v_rndne_f32_e32 v17, v17
	v_cmp_nlt_f32_e32 vcc, s5, v17
	v_cndmask_b32_e32 v18, v1, v17, vcc
	v_cmp_ngt_f32_e32 vcc, s6, v17
	v_cndmask_b32_e32 v17, v14, v18, vcc
	v_div_scale_f32 v18, s[8:9], s25, s25, v6
	v_rcp_f32_e32 v19, v18
	v_cvt_i32_f32_e32 v17, v17
	v_fma_f32 v20, -v18, v19, 1.0
	v_fmac_f32_e32 v19, v20, v19
	v_div_scale_f32 v20, vcc, v6, s25, v6
	v_mul_f32_e32 v21, v20, v19
	v_fma_f32 v22, -v18, v21, v20
	v_fmac_f32_e32 v21, v22, v19
	v_fma_f32 v18, -v18, v21, v20
	v_div_fmas_f32 v18, v18, v19, v21
	v_div_fixup_f32 v6, v18, s25, v6
	v_rndne_f32_e32 v6, v6
	v_cmp_nlt_f32_e32 vcc, s5, v6
	v_cndmask_b32_e32 v18, v1, v6, vcc
	v_cmp_ngt_f32_e32 vcc, s6, v6
	v_cndmask_b32_e32 v6, v14, v18, vcc
	v_lshlrev_b32_e32 v18, 16, v7
	v_div_scale_f32 v19, s[8:9], s25, s25, v18
	v_rcp_f32_e32 v20, v19
	v_and_b32_e32 v7, 0xffff0000, v7
	v_cvt_i32_f32_sdwa v6, v6 dst_sel:BYTE_1 dst_unused:UNUSED_PAD src0_sel:DWORD
	v_fma_f32 v21, -v19, v20, 1.0
	v_fmac_f32_e32 v20, v21, v20
	v_div_scale_f32 v21, vcc, v18, s25, v18
	v_mul_f32_e32 v22, v21, v20
	v_fma_f32 v23, -v19, v22, v21
	v_fmac_f32_e32 v22, v23, v20
	v_fma_f32 v19, -v19, v22, v21
	v_div_fmas_f32 v19, v19, v20, v22
	v_div_fixup_f32 v18, v19, s25, v18
	v_rndne_f32_e32 v18, v18
	v_cmp_nlt_f32_e32 vcc, s5, v18
	v_cndmask_b32_e32 v19, v1, v18, vcc
	v_cmp_ngt_f32_e32 vcc, s6, v18
	v_cndmask_b32_e32 v18, v14, v19, vcc
	v_div_scale_f32 v19, s[8:9], s25, s25, v7
	v_rcp_f32_e32 v20, v19
	v_cvt_i32_f32_e32 v18, v18
	v_fma_f32 v21, -v19, v20, 1.0
	v_fmac_f32_e32 v20, v21, v20
	v_div_scale_f32 v21, vcc, v7, s25, v7
	v_mul_f32_e32 v22, v21, v20
	v_fma_f32 v23, -v19, v22, v21
	v_fmac_f32_e32 v22, v23, v20
	v_fma_f32 v19, -v19, v22, v21
	v_div_fmas_f32 v19, v19, v20, v22
	v_div_fixup_f32 v7, v19, s25, v7
	v_rndne_f32_e32 v7, v7
	v_cmp_nlt_f32_e32 vcc, s5, v7
	v_cndmask_b32_e32 v19, v1, v7, vcc
	v_cmp_ngt_f32_e32 vcc, s6, v7
	v_cndmask_b32_e32 v7, v14, v19, vcc
	v_lshlrev_b32_e32 v19, 16, v8
	v_div_scale_f32 v20, s[8:9], s25, s25, v19
	v_rcp_f32_e32 v21, v20
	v_and_b32_e32 v8, 0xffff0000, v8
	v_cvt_i32_f32_sdwa v7, v7 dst_sel:BYTE_1 dst_unused:UNUSED_PAD src0_sel:DWORD
	;; [unrolled: 36-line block ×3, first 2 shown]
	v_fma_f32 v23, -v21, v22, 1.0
	v_fmac_f32_e32 v22, v23, v22
	v_div_scale_f32 v23, vcc, v20, s25, v20
	v_mul_f32_e32 v24, v23, v22
	v_fma_f32 v25, -v21, v24, v23
	v_fmac_f32_e32 v24, v25, v22
	v_fma_f32 v21, -v21, v24, v23
	v_div_fmas_f32 v21, v21, v22, v24
	v_div_fixup_f32 v20, v21, s25, v20
	v_rndne_f32_e32 v20, v20
	v_cmp_nlt_f32_e32 vcc, s5, v20
	v_cndmask_b32_e32 v21, v1, v20, vcc
	v_cmp_ngt_f32_e32 vcc, s6, v20
	v_cndmask_b32_e32 v20, v14, v21, vcc
	v_div_scale_f32 v21, s[8:9], s25, s25, v9
	v_rcp_f32_e32 v22, v21
	v_cvt_i32_f32_e32 v20, v20
	v_fma_f32 v23, -v21, v22, 1.0
	v_fmac_f32_e32 v22, v23, v22
	v_div_scale_f32 v23, vcc, v9, s25, v9
	v_mul_f32_e32 v24, v23, v22
	v_fma_f32 v25, -v21, v24, v23
	v_fmac_f32_e32 v24, v25, v22
	v_fma_f32 v21, -v21, v24, v23
	v_div_fmas_f32 v21, v21, v22, v24
	v_div_fixup_f32 v9, v21, s25, v9
	v_rndne_f32_e32 v9, v9
	v_cmp_nlt_f32_e32 vcc, s5, v9
	v_cndmask_b32_e32 v21, v1, v9, vcc
	v_cmp_ngt_f32_e32 vcc, s6, v9
	v_cndmask_b32_e32 v9, v14, v21, vcc
	s_waitcnt vmcnt(0)
	v_lshlrev_b32_e32 v21, 16, v2
	v_div_scale_f32 v22, s[8:9], s25, s25, v21
	v_rcp_f32_e32 v23, v22
	v_and_b32_e32 v2, 0xffff0000, v2
	v_cvt_i32_f32_sdwa v9, v9 dst_sel:BYTE_1 dst_unused:UNUSED_PAD src0_sel:DWORD
	v_fma_f32 v24, -v22, v23, 1.0
	v_fmac_f32_e32 v23, v24, v23
	v_div_scale_f32 v24, vcc, v21, s25, v21
	v_mul_f32_e32 v25, v24, v23
	v_fma_f32 v26, -v22, v25, v24
	v_fmac_f32_e32 v25, v26, v23
	v_fma_f32 v22, -v22, v25, v24
	v_div_fmas_f32 v22, v22, v23, v25
	v_div_fixup_f32 v21, v22, s25, v21
	v_rndne_f32_e32 v21, v21
	v_cmp_nlt_f32_e32 vcc, s5, v21
	v_cndmask_b32_e32 v22, v1, v21, vcc
	v_cmp_ngt_f32_e32 vcc, s6, v21
	v_cndmask_b32_e32 v21, v14, v22, vcc
	v_div_scale_f32 v22, s[8:9], s25, s25, v2
	v_rcp_f32_e32 v23, v22
	v_cvt_i32_f32_e32 v21, v21
	v_fma_f32 v24, -v22, v23, 1.0
	v_fmac_f32_e32 v23, v24, v23
	v_div_scale_f32 v24, vcc, v2, s25, v2
	v_mul_f32_e32 v25, v24, v23
	v_fma_f32 v26, -v22, v25, v24
	v_fmac_f32_e32 v25, v26, v23
	v_fma_f32 v22, -v22, v25, v24
	v_div_fmas_f32 v22, v22, v23, v25
	v_div_fixup_f32 v2, v22, s25, v2
	v_rndne_f32_e32 v2, v2
	v_cmp_nlt_f32_e32 vcc, s5, v2
	v_cndmask_b32_e32 v22, v1, v2, vcc
	v_cmp_ngt_f32_e32 vcc, s6, v2
	v_cndmask_b32_e32 v2, v14, v22, vcc
	v_lshlrev_b32_e32 v22, 16, v3
	v_div_scale_f32 v23, s[8:9], s25, s25, v22
	v_rcp_f32_e32 v24, v23
	v_and_b32_e32 v3, 0xffff0000, v3
	v_cvt_i32_f32_sdwa v2, v2 dst_sel:BYTE_1 dst_unused:UNUSED_PAD src0_sel:DWORD
	v_fma_f32 v25, -v23, v24, 1.0
	v_fmac_f32_e32 v24, v25, v24
	v_div_scale_f32 v25, vcc, v22, s25, v22
	v_mul_f32_e32 v26, v25, v24
	v_fma_f32 v27, -v23, v26, v25
	v_fmac_f32_e32 v26, v27, v24
	v_fma_f32 v23, -v23, v26, v25
	v_div_fmas_f32 v23, v23, v24, v26
	v_div_fixup_f32 v22, v23, s25, v22
	v_rndne_f32_e32 v22, v22
	v_cmp_nlt_f32_e32 vcc, s5, v22
	v_cndmask_b32_e32 v23, v1, v22, vcc
	v_cmp_ngt_f32_e32 vcc, s6, v22
	v_cndmask_b32_e32 v22, v14, v23, vcc
	v_div_scale_f32 v23, s[8:9], s25, s25, v3
	v_rcp_f32_e32 v24, v23
	v_cvt_i32_f32_e32 v22, v22
	v_or_b32_sdwa v2, v21, v2 dst_sel:DWORD dst_unused:UNUSED_PAD src0_sel:BYTE_0 src1_sel:DWORD
	v_fma_f32 v25, -v23, v24, 1.0
	v_fmac_f32_e32 v24, v25, v24
	v_div_scale_f32 v25, vcc, v3, s25, v3
	v_mul_f32_e32 v26, v25, v24
	v_fma_f32 v27, -v23, v26, v25
	v_fmac_f32_e32 v26, v27, v24
	v_fma_f32 v23, -v23, v26, v25
	v_div_fmas_f32 v23, v23, v24, v26
	v_div_fixup_f32 v3, v23, s25, v3
	v_rndne_f32_e32 v3, v3
	v_cmp_nlt_f32_e32 vcc, s5, v3
	v_cndmask_b32_e32 v23, v1, v3, vcc
	v_cmp_ngt_f32_e32 vcc, s6, v3
	v_cndmask_b32_e32 v3, v14, v23, vcc
	v_lshlrev_b32_e32 v23, 16, v4
	v_div_scale_f32 v24, s[8:9], s25, s25, v23
	v_rcp_f32_e32 v25, v24
	v_and_b32_e32 v4, 0xffff0000, v4
	v_cvt_i32_f32_sdwa v3, v3 dst_sel:BYTE_1 dst_unused:UNUSED_PAD src0_sel:DWORD
	v_fma_f32 v26, -v24, v25, 1.0
	v_fmac_f32_e32 v25, v26, v25
	v_div_scale_f32 v26, vcc, v23, s25, v23
	v_mul_f32_e32 v27, v26, v25
	v_fma_f32 v28, -v24, v27, v26
	v_fmac_f32_e32 v27, v28, v25
	v_fma_f32 v24, -v24, v27, v26
	v_div_fmas_f32 v24, v24, v25, v27
	v_div_fixup_f32 v23, v24, s25, v23
	v_rndne_f32_e32 v23, v23
	v_cmp_nlt_f32_e32 vcc, s5, v23
	v_cndmask_b32_e32 v24, v1, v23, vcc
	v_cmp_ngt_f32_e32 vcc, s6, v23
	v_cndmask_b32_e32 v23, v14, v24, vcc
	v_div_scale_f32 v24, s[8:9], s25, s25, v4
	v_rcp_f32_e32 v25, v24
	v_cvt_i32_f32_e32 v23, v23
	v_or_b32_sdwa v3, v22, v3 dst_sel:WORD_1 dst_unused:UNUSED_PAD src0_sel:BYTE_0 src1_sel:DWORD
	v_fma_f32 v26, -v24, v25, 1.0
	v_fmac_f32_e32 v25, v26, v25
	v_div_scale_f32 v26, vcc, v4, s25, v4
	v_mul_f32_e32 v27, v26, v25
	v_fma_f32 v28, -v24, v27, v26
	v_fmac_f32_e32 v27, v28, v25
	v_fma_f32 v24, -v24, v27, v26
	v_div_fmas_f32 v24, v24, v25, v27
	v_div_fixup_f32 v4, v24, s25, v4
	v_rndne_f32_e32 v4, v4
	v_cmp_nlt_f32_e32 vcc, s5, v4
	v_cndmask_b32_e32 v24, v1, v4, vcc
	v_cmp_ngt_f32_e32 vcc, s6, v4
	v_cndmask_b32_e32 v4, v14, v24, vcc
	v_lshlrev_b32_e32 v24, 16, v5
	v_div_scale_f32 v25, s[8:9], s25, s25, v24
	v_rcp_f32_e32 v26, v25
	v_and_b32_e32 v5, 0xffff0000, v5
	v_cvt_i32_f32_sdwa v4, v4 dst_sel:BYTE_1 dst_unused:UNUSED_PAD src0_sel:DWORD
	v_fma_f32 v27, -v25, v26, 1.0
	v_fmac_f32_e32 v26, v27, v26
	v_div_scale_f32 v27, vcc, v24, s25, v24
	v_mul_f32_e32 v28, v27, v26
	v_fma_f32 v29, -v25, v28, v27
	v_fmac_f32_e32 v28, v29, v26
	v_fma_f32 v25, -v25, v28, v27
	v_div_fmas_f32 v25, v25, v26, v28
	v_div_fixup_f32 v24, v25, s25, v24
	v_rndne_f32_e32 v24, v24
	v_cmp_nlt_f32_e32 vcc, s5, v24
	v_cndmask_b32_e32 v25, v1, v24, vcc
	v_cmp_ngt_f32_e32 vcc, s6, v24
	v_cndmask_b32_e32 v24, v14, v25, vcc
	v_div_scale_f32 v25, s[8:9], s25, s25, v5
	v_rcp_f32_e32 v26, v25
	v_cvt_i32_f32_e32 v24, v24
	v_or_b32_sdwa v4, v23, v4 dst_sel:DWORD dst_unused:UNUSED_PAD src0_sel:BYTE_0 src1_sel:DWORD
	v_fma_f32 v27, -v25, v26, 1.0
	v_fmac_f32_e32 v26, v27, v26
	v_div_scale_f32 v27, vcc, v5, s25, v5
	v_mul_f32_e32 v28, v27, v26
	v_fma_f32 v29, -v25, v28, v27
	v_fmac_f32_e32 v28, v29, v26
	v_fma_f32 v25, -v25, v28, v27
	v_div_fmas_f32 v25, v25, v26, v28
	v_div_fixup_f32 v5, v25, s25, v5
	v_rndne_f32_e32 v5, v5
	v_cmp_nlt_f32_e32 vcc, s5, v5
	v_cndmask_b32_e32 v25, v1, v5, vcc
	v_cmp_ngt_f32_e32 vcc, s6, v5
	v_cndmask_b32_e32 v5, v14, v25, vcc
	v_cvt_i32_f32_sdwa v5, v5 dst_sel:BYTE_1 dst_unused:UNUSED_PAD src0_sel:DWORD
	v_or_b32_sdwa v5, v24, v5 dst_sel:WORD_1 dst_unused:UNUSED_PAD src0_sel:BYTE_0 src1_sel:DWORD
	v_or_b32_sdwa v5, v4, v5 dst_sel:DWORD dst_unused:UNUSED_PAD src0_sel:WORD_0 src1_sel:DWORD
	v_or_b32_sdwa v4, v2, v3 dst_sel:DWORD dst_unused:UNUSED_PAD src0_sel:WORD_0 src1_sel:DWORD
	v_or_b32_sdwa v2, v19, v8 dst_sel:DWORD dst_unused:UNUSED_PAD src0_sel:BYTE_0 src1_sel:DWORD
	v_or_b32_sdwa v3, v20, v9 dst_sel:WORD_1 dst_unused:UNUSED_PAD src0_sel:BYTE_0 src1_sel:DWORD
	v_or_b32_sdwa v3, v2, v3 dst_sel:DWORD dst_unused:UNUSED_PAD src0_sel:WORD_0 src1_sel:DWORD
	v_or_b32_sdwa v2, v17, v6 dst_sel:DWORD dst_unused:UNUSED_PAD src0_sel:BYTE_0 src1_sel:DWORD
	v_or_b32_sdwa v6, v18, v7 dst_sel:WORD_1 dst_unused:UNUSED_PAD src0_sel:BYTE_0 src1_sel:DWORD
	v_or_b32_sdwa v2, v2, v6 dst_sel:DWORD dst_unused:UNUSED_PAD src0_sel:WORD_0 src1_sel:DWORD
	global_store_dwordx4 v[10:11], v[2:5], off
	v_add_co_u32_e32 v10, vcc, s3, v10
	v_addc_co_u32_e32 v11, vcc, v11, v15, vcc
	v_add_co_u32_e32 v12, vcc, s4, v12
	v_addc_co_u32_e32 v13, vcc, v13, v16, vcc
	v_cmp_le_i32_e32 vcc, s2, v0
	s_or_b64 s[0:1], vcc, s[0:1]
	s_andn2_b64 exec, exec, s[0:1]
	s_cbranch_execnz .LBB4_24
.LBB4_25:
	s_endpgm
	.section	.rodata,"a",@progbits
	.p2align	6, 0x0
	.amdhsa_kernel _ZN4vllm31static_scaled_int8_quant_kernelIN3c108BFloat16EfEEvPKT_PaPKT0_i
		.amdhsa_group_segment_fixed_size 0
		.amdhsa_private_segment_fixed_size 0
		.amdhsa_kernarg_size 288
		.amdhsa_user_sgpr_count 6
		.amdhsa_user_sgpr_private_segment_buffer 1
		.amdhsa_user_sgpr_dispatch_ptr 0
		.amdhsa_user_sgpr_queue_ptr 0
		.amdhsa_user_sgpr_kernarg_segment_ptr 1
		.amdhsa_user_sgpr_dispatch_id 0
		.amdhsa_user_sgpr_flat_scratch_init 0
		.amdhsa_user_sgpr_kernarg_preload_length 0
		.amdhsa_user_sgpr_kernarg_preload_offset 0
		.amdhsa_user_sgpr_private_segment_size 0
		.amdhsa_uses_dynamic_stack 0
		.amdhsa_system_sgpr_private_segment_wavefront_offset 0
		.amdhsa_system_sgpr_workgroup_id_x 1
		.amdhsa_system_sgpr_workgroup_id_y 0
		.amdhsa_system_sgpr_workgroup_id_z 0
		.amdhsa_system_sgpr_workgroup_info 0
		.amdhsa_system_vgpr_workitem_id 0
		.amdhsa_next_free_vgpr 36
		.amdhsa_next_free_sgpr 35
		.amdhsa_accum_offset 36
		.amdhsa_reserve_vcc 1
		.amdhsa_reserve_flat_scratch 0
		.amdhsa_float_round_mode_32 0
		.amdhsa_float_round_mode_16_64 0
		.amdhsa_float_denorm_mode_32 3
		.amdhsa_float_denorm_mode_16_64 3
		.amdhsa_dx10_clamp 1
		.amdhsa_ieee_mode 1
		.amdhsa_fp16_overflow 0
		.amdhsa_tg_split 0
		.amdhsa_exception_fp_ieee_invalid_op 0
		.amdhsa_exception_fp_denorm_src 0
		.amdhsa_exception_fp_ieee_div_zero 0
		.amdhsa_exception_fp_ieee_overflow 0
		.amdhsa_exception_fp_ieee_underflow 0
		.amdhsa_exception_fp_ieee_inexact 0
		.amdhsa_exception_int_div_zero 0
	.end_amdhsa_kernel
	.section	.text._ZN4vllm31static_scaled_int8_quant_kernelIN3c108BFloat16EfEEvPKT_PaPKT0_i,"axG",@progbits,_ZN4vllm31static_scaled_int8_quant_kernelIN3c108BFloat16EfEEvPKT_PaPKT0_i,comdat
.Lfunc_end4:
	.size	_ZN4vllm31static_scaled_int8_quant_kernelIN3c108BFloat16EfEEvPKT_PaPKT0_i, .Lfunc_end4-_ZN4vllm31static_scaled_int8_quant_kernelIN3c108BFloat16EfEEvPKT_PaPKT0_i
                                        ; -- End function
	.section	.AMDGPU.csdata,"",@progbits
; Kernel info:
; codeLenInByte = 6300
; NumSgprs: 39
; NumVgprs: 36
; NumAgprs: 0
; TotalNumVgprs: 36
; ScratchSize: 0
; MemoryBound: 0
; FloatMode: 240
; IeeeMode: 1
; LDSByteSize: 0 bytes/workgroup (compile time only)
; SGPRBlocks: 4
; VGPRBlocks: 4
; NumSGPRsForWavesPerEU: 39
; NumVGPRsForWavesPerEU: 36
; AccumOffset: 36
; Occupancy: 8
; WaveLimiterHint : 0
; COMPUTE_PGM_RSRC2:SCRATCH_EN: 0
; COMPUTE_PGM_RSRC2:USER_SGPR: 6
; COMPUTE_PGM_RSRC2:TRAP_HANDLER: 0
; COMPUTE_PGM_RSRC2:TGID_X_EN: 1
; COMPUTE_PGM_RSRC2:TGID_Y_EN: 0
; COMPUTE_PGM_RSRC2:TGID_Z_EN: 0
; COMPUTE_PGM_RSRC2:TIDIG_COMP_CNT: 0
; COMPUTE_PGM_RSRC3_GFX90A:ACCUM_OFFSET: 8
; COMPUTE_PGM_RSRC3_GFX90A:TG_SPLIT: 0
	.section	.text._ZN4vllm35static_scaled_int8_azp_quant_kernelIN3c108BFloat16EfiEEvPKT_PaPKT0_PKT1_i,"axG",@progbits,_ZN4vllm35static_scaled_int8_azp_quant_kernelIN3c108BFloat16EfiEEvPKT_PaPKT0_PKT1_i,comdat
	.protected	_ZN4vllm35static_scaled_int8_azp_quant_kernelIN3c108BFloat16EfiEEvPKT_PaPKT0_PKT1_i ; -- Begin function _ZN4vllm35static_scaled_int8_azp_quant_kernelIN3c108BFloat16EfiEEvPKT_PaPKT0_PKT1_i
	.globl	_ZN4vllm35static_scaled_int8_azp_quant_kernelIN3c108BFloat16EfiEEvPKT_PaPKT0_PKT1_i
	.p2align	8
	.type	_ZN4vllm35static_scaled_int8_azp_quant_kernelIN3c108BFloat16EfiEEvPKT_PaPKT0_PKT1_i,@function
_ZN4vllm35static_scaled_int8_azp_quant_kernelIN3c108BFloat16EfiEEvPKT_PaPKT0_PKT1_i: ; @_ZN4vllm35static_scaled_int8_azp_quant_kernelIN3c108BFloat16EfiEEvPKT_PaPKT0_PKT1_i
; %bb.0:
	s_load_dwordx8 s[8:15], s[4:5], 0x0
	s_load_dword s33, s[4:5], 0x20
	s_load_dword s0, s[4:5], 0x34
	s_waitcnt lgkmcnt(0)
	s_ashr_i32 s3, s33, 31
	s_load_dword s2, s[12:13], 0x0
	s_and_b32 s28, s0, 0xffff
	s_mul_i32 s3, s3, s6
	s_load_dword s29, s[14:15], 0x0
	s_mul_i32 s14, s33, s6
	s_waitcnt lgkmcnt(0)
	v_div_scale_f32 v1, s[0:1], s2, s2, 1.0
	v_rcp_f32_e32 v2, v1
	s_mul_hi_u32 s0, s33, s6
	s_add_i32 s15, s0, s3
	v_div_scale_f32 v3, vcc, 1.0, s2, 1.0
	v_fma_f32 v4, -v1, v2, 1.0
	v_fmac_f32_e32 v2, v4, v2
	s_lshl_b64 s[12:13], s[14:15], 1
	v_mul_f32_e32 v4, v3, v2
	s_add_u32 s30, s8, s12
	v_fma_f32 v5, -v1, v4, v3
	s_addc_u32 s31, s9, s13
	v_fmac_f32_e32 v4, v5, v2
	s_add_u32 s16, s10, s14
	v_fma_f32 v1, -v1, v4, v3
	s_addc_u32 s17, s11, s15
	s_and_b32 s0, s30, 31
	s_mov_b32 s1, 0
	v_div_fmas_f32 v1, v1, v2, v4
	s_cmp_lg_u64 s[0:1], 0
	v_div_fixup_f32 v38, v1, s2, 1.0
	s_cselect_b64 s[0:1], -1, 0
	s_and_b32 s2, s33, 15
	s_cmp_lg_u32 s2, 0
	s_cselect_b64 s[2:3], -1, 0
	s_or_b64 s[2:3], s[2:3], s[0:1]
	s_mov_b64 s[0:1], -1
	s_and_b64 vcc, exec, s[2:3]
	s_cbranch_vccz .LBB5_98
; %bb.1:
	s_sub_i32 s0, 0, s30
	s_bfe_u32 s0, s0, 0x40001
	s_min_i32 s18, s0, s33
	v_cmp_gt_i32_e32 vcc, s18, v0
	s_and_saveexec_b64 s[2:3], vcc
	s_cbranch_execz .LBB5_13
; %bb.2:
	v_cvt_f32_u32_e32 v1, s28
	v_add_u32_e32 v2, s28, v0
	v_mov_b32_e32 v3, s28
	s_sub_i32 s4, 0, s28
	v_rcp_iflag_f32_e32 v1, v1
	v_cmp_gt_i32_e32 vcc, s18, v2
	v_max_i32_e32 v4, s18, v2
	v_addc_co_u32_e64 v2, s[0:1], v0, v3, vcc
	v_mul_f32_e32 v1, 0x4f7ffffe, v1
	v_cvt_u32_f32_e32 v1, v1
	v_sub_u32_e32 v2, v4, v2
	s_cmp_eq_u32 s28, 1
	v_mul_lo_u32 v3, s4, v1
	v_mul_hi_u32 v3, v1, v3
	v_add_u32_e32 v1, v1, v3
	v_mul_hi_u32 v1, v2, v1
	v_mul_lo_u32 v3, v1, s28
	v_sub_u32_e32 v2, v2, v3
	v_add_u32_e32 v4, 1, v1
	v_cmp_le_u32_e64 s[0:1], s28, v2
	v_subrev_u32_e32 v3, s28, v2
	v_cndmask_b32_e64 v1, v1, v4, s[0:1]
	v_cndmask_b32_e64 v2, v2, v3, s[0:1]
	v_add_u32_e32 v3, 1, v1
	v_cmp_le_u32_e64 s[0:1], s28, v2
	v_cndmask_b32_e64 v1, v1, v3, s[0:1]
	v_addc_co_u32_e32 v1, vcc, 1, v1, vcc
	v_cmp_lt_u32_e32 vcc, 3, v1
	s_cselect_b64 s[0:1], -1, 0
	s_and_b64 s[6:7], vcc, s[0:1]
	s_mov_b64 s[4:5], -1
	v_mov_b32_e32 v2, v0
	s_and_saveexec_b64 s[0:1], s[6:7]
	s_cbranch_execz .LBB5_6
; %bb.3:
	v_and_b32_e32 v6, -4, v1
	v_mov_b32_e32 v39, v38
	s_mov_b32 s6, s29
	s_mov_b32 s7, s29
	;; [unrolled: 1-line block ×3, first 2 shown]
	s_mov_b64 s[4:5], 0
	v_mov_b32_e32 v3, 0
	v_mov_b32_e32 v7, s31
	;; [unrolled: 1-line block ×4, first 2 shown]
	s_mov_b32 s20, 0x4f000000
	s_mov_b32 s21, 0xcf000000
	v_mov_b32_e32 v8, 0xcf000000
	v_bfrev_b32_e32 v9, -2
	s_movk_i32 s22, 0xff80
	v_mov_b32_e32 v10, 0x7f
	v_mov_b32_e32 v2, v0
	;; [unrolled: 1-line block ×3, first 2 shown]
.LBB5_4:                                ; =>This Inner Loop Header: Depth=1
	v_lshlrev_b64 v[12:13], 1, v[2:3]
	v_add_co_u32_e32 v12, vcc, s30, v12
	v_addc_co_u32_e32 v13, vcc, v7, v13, vcc
	global_load_dwordx2 v[12:13], v[12:13], off
	v_add_u32_e32 v11, -4, v11
	v_cmp_eq_u32_e32 vcc, 0, v11
	s_or_b64 s[4:5], vcc, s[4:5]
	s_waitcnt vmcnt(0)
	v_and_b32_e32 v15, 0xffff0000, v13
	v_lshlrev_b32_e32 v14, 16, v13
	v_pk_mul_f32 v[14:15], v[4:5], v[14:15]
	v_and_b32_e32 v13, 0xffff0000, v12
	v_lshlrev_b32_e32 v12, 16, v12
	v_rndne_f32_e32 v14, v14
	v_pk_mul_f32 v[12:13], v[38:39], v[12:13]
	v_rndne_f32_e32 v15, v15
	v_cmp_nge_f32_e32 vcc, s21, v14
	v_rndne_f32_e32 v12, v12
	v_cndmask_b32_e32 v16, v8, v14, vcc
	v_cmp_nge_f32_e32 vcc, s21, v15
	v_rndne_f32_e32 v13, v13
	v_cndmask_b32_e32 v17, v8, v15, vcc
	v_cmp_nge_f32_e32 vcc, s21, v12
	v_cvt_i32_f32_e32 v16, v16
	v_cndmask_b32_e32 v18, v8, v12, vcc
	v_cmp_nge_f32_e32 vcc, s21, v13
	v_cvt_i32_f32_e32 v17, v17
	v_cndmask_b32_e32 v19, v8, v13, vcc
	v_cvt_i32_f32_e32 v18, v18
	v_cvt_i32_f32_e32 v19, v19
	v_cmp_nle_f32_e32 vcc, s20, v14
	v_cndmask_b32_e32 v14, v9, v16, vcc
	v_cmp_nle_f32_e32 vcc, s20, v15
	v_cndmask_b32_e32 v15, v9, v17, vcc
	;; [unrolled: 2-line block ×4, first 2 shown]
	v_add_u32_e32 v13, s6, v13
	v_add_u32_e32 v15, s19, v15
	;; [unrolled: 1-line block ×4, first 2 shown]
	v_med3_i32 v15, v15, s22, v10
	v_med3_i32 v13, v13, s22, v10
	;; [unrolled: 1-line block ×4, first 2 shown]
	v_lshlrev_b16_e32 v13, 8, v13
	v_lshlrev_b16_e32 v15, 8, v15
	v_or_b32_sdwa v12, v12, v13 dst_sel:DWORD dst_unused:UNUSED_PAD src0_sel:BYTE_0 src1_sel:DWORD
	v_or_b32_sdwa v13, v14, v15 dst_sel:WORD_1 dst_unused:UNUSED_PAD src0_sel:BYTE_0 src1_sel:DWORD
	v_or_b32_sdwa v12, v12, v13 dst_sel:DWORD dst_unused:UNUSED_PAD src0_sel:WORD_0 src1_sel:DWORD
	global_store_dword v2, v12, s[16:17]
	v_add_u32_e32 v2, 4, v2
	s_andn2_b64 exec, exec, s[4:5]
	s_cbranch_execnz .LBB5_4
; %bb.5:
	s_or_b64 exec, exec, s[4:5]
	v_cmp_ne_u32_e32 vcc, v1, v6
	v_add_u32_e32 v2, v0, v6
	s_orn2_b64 s[4:5], vcc, exec
.LBB5_6:
	s_or_b64 exec, exec, s[0:1]
	s_and_b64 exec, exec, s[4:5]
	s_cbranch_execz .LBB5_13
; %bb.7:
	s_add_u32 s0, s10, s14
	s_addc_u32 s1, s11, s15
	v_mov_b32_e32 v3, 0
	v_mov_b32_e32 v4, s1
	v_add_co_u32_e32 v1, vcc, s0, v2
	s_add_u32 s0, s8, s12
	v_addc_co_u32_e32 v6, vcc, 0, v4, vcc
	v_lshlrev_b64 v[4:5], 1, v[2:3]
	s_addc_u32 s1, s9, s13
	s_mov_b32 s4, 0
	v_mov_b32_e32 v3, s1
	v_add_co_u32_e32 v4, vcc, s0, v4
	v_addc_co_u32_e32 v5, vcc, v3, v5, vcc
	s_lshl_b32 s19, s28, 1
	s_mov_b64 s[0:1], 0
	s_mov_b32 s22, 0x4f000000
	s_mov_b32 s23, 0xcf000000
	s_movk_i32 s24, 0xff80
	v_mov_b32_e32 v3, 0x7f
	v_mov_b32_e32 v7, s4
	s_mov_b64 s[4:5], 0
	s_branch .LBB5_10
.LBB5_8:                                ;   in Loop: Header=BB5_10 Depth=1
	s_or_b64 exec, exec, s[20:21]
.LBB5_9:                                ;   in Loop: Header=BB5_10 Depth=1
	s_or_b64 exec, exec, s[6:7]
	v_mov_b32_e32 v9, s5
	v_add_co_u32_e32 v10, vcc, s4, v1
	v_add_u32_e32 v8, s29, v8
	v_addc_co_u32_e32 v11, vcc, v6, v9, vcc
	v_med3_i32 v8, v8, s24, v3
	s_add_u32 s4, s4, s28
	global_store_byte v[10:11], v8, off
	v_add_u32_e32 v8, s4, v2
	s_addc_u32 s5, s5, 0
	v_cmp_le_i32_e32 vcc, s18, v8
	s_or_b64 s[0:1], vcc, s[0:1]
	v_add_co_u32_e32 v4, vcc, s19, v4
	v_addc_co_u32_e32 v5, vcc, v5, v7, vcc
	s_andn2_b64 exec, exec, s[0:1]
	s_cbranch_execz .LBB5_13
.LBB5_10:                               ; =>This Inner Loop Header: Depth=1
	global_load_ushort v8, v[4:5], off
	s_waitcnt vmcnt(0)
	v_lshlrev_b32_e32 v8, 16, v8
	v_mul_f32_e32 v8, v38, v8
	v_rndne_f32_e32 v9, v8
	v_cmp_nle_f32_e32 vcc, s22, v9
	v_bfrev_b32_e32 v8, -2
	s_and_saveexec_b64 s[6:7], vcc
	s_cbranch_execz .LBB5_9
; %bb.11:                               ;   in Loop: Header=BB5_10 Depth=1
	v_cmp_nge_f32_e32 vcc, s23, v9
	v_bfrev_b32_e32 v8, 1
	s_and_saveexec_b64 s[20:21], vcc
	s_cbranch_execz .LBB5_8
; %bb.12:                               ;   in Loop: Header=BB5_10 Depth=1
	v_cvt_i32_f32_e32 v8, v9
	s_branch .LBB5_8
.LBB5_13:
	s_or_b64 exec, exec, s[2:3]
	s_ashr_i32 s19, s18, 31
	s_lshl_b64 s[20:21], s[18:19], 1
	s_add_u32 s35, s30, s20
	s_addc_u32 s37, s31, s21
	s_add_u32 s36, s16, s18
	s_addc_u32 s38, s17, s19
	s_sub_i32 s34, s33, s18
	s_ashr_i32 s0, s34, 31
	s_lshr_b32 s0, s0, 28
	s_add_i32 s0, s34, s0
	s_ashr_i32 s39, s0, 4
	v_cmp_gt_i32_e32 vcc, s39, v0
	s_and_saveexec_b64 s[22:23], vcc
	s_cbranch_execz .LBB5_85
; %bb.14:
	v_cvt_f32_u32_e32 v1, s28
	v_add_u32_e32 v2, s28, v0
	v_mov_b32_e32 v3, s28
	s_sub_i32 s2, 0, s28
	v_rcp_iflag_f32_e32 v1, v1
	v_cmp_gt_i32_e32 vcc, s39, v2
	v_max_i32_e32 v4, s39, v2
	v_addc_co_u32_e64 v2, s[0:1], v0, v3, vcc
	v_mul_f32_e32 v1, 0x4f7ffffe, v1
	v_cvt_u32_f32_e32 v1, v1
	v_sub_u32_e32 v2, v4, v2
	s_cmp_eq_u32 s28, 1
	v_mov_b32_e32 v10, v0
	v_mul_lo_u32 v3, s2, v1
	v_mul_hi_u32 v3, v1, v3
	v_add_u32_e32 v1, v1, v3
	v_mul_hi_u32 v1, v2, v1
	v_mul_lo_u32 v3, v1, s28
	v_sub_u32_e32 v2, v2, v3
	v_add_u32_e32 v4, 1, v1
	v_cmp_le_u32_e64 s[0:1], s28, v2
	v_subrev_u32_e32 v3, s28, v2
	v_cndmask_b32_e64 v1, v1, v4, s[0:1]
	v_cndmask_b32_e64 v2, v2, v3, s[0:1]
	v_add_u32_e32 v3, 1, v1
	v_cmp_le_u32_e64 s[0:1], s28, v2
	v_cndmask_b32_e64 v1, v1, v3, s[0:1]
	v_addc_co_u32_e32 v50, vcc, 1, v1, vcc
	v_cmp_lt_u32_e32 vcc, 3, v50
	s_cselect_b64 s[0:1], -1, 0
	s_and_b64 s[2:3], vcc, s[0:1]
	s_mov_b64 s[0:1], -1
	s_and_saveexec_b64 s[24:25], s[2:3]
	s_cbranch_execz .LBB5_18
; %bb.15:
	v_add_u32_e32 v3, 3, v0
	v_add_u32_e32 v2, 2, v0
	v_and_b32_e32 v51, -4, v50
	v_add_u32_e32 v1, 1, v0
	v_pk_mov_b32 v[4:5], v[2:3], v[2:3] op_sel:[0,1]
	v_mov_b32_e32 v39, v38
	s_mov_b32 s40, s29
	s_mov_b32 s41, s29
	;; [unrolled: 1-line block ×3, first 2 shown]
	s_mov_b64 s[26:27], 0
	v_mov_b32_e32 v52, s37
	v_mov_b32_e32 v40, v38
	;; [unrolled: 1-line block ×3, first 2 shown]
	s_mov_b32 s43, 0x4f000000
	s_mov_b32 s44, 0xcf000000
	v_mov_b32_e32 v53, 0xcf000000
	v_bfrev_b32_e32 v54, -2
	s_movk_i32 s45, 0xff80
	v_mov_b32_e32 v55, 0x7f
	v_mov_b32_e32 v56, s38
	v_mov_b32_e32 v43, 0
	v_mov_b32_e32 v57, v51
	v_pk_mov_b32 v[2:3], v[0:1], v[0:1] op_sel:[0,1]
.LBB5_16:                               ; =>This Inner Loop Header: Depth=1
	v_mov_b32_e32 v42, v2
	v_lshlrev_b64 v[6:7], 5, v[42:43]
	v_add_co_u32_e32 v18, vcc, s35, v6
	v_mov_b32_e32 v44, v3
	v_mov_b32_e32 v45, v43
	v_addc_co_u32_e32 v19, vcc, v52, v7, vcc
	v_lshlrev_b64 v[6:7], 5, v[44:45]
	v_add_co_u32_e32 v20, vcc, s35, v6
	v_mov_b32_e32 v46, v4
	v_mov_b32_e32 v47, v43
	v_addc_co_u32_e32 v21, vcc, v52, v7, vcc
	;; [unrolled: 5-line block ×3, first 2 shown]
	v_lshlrev_b64 v[6:7], 5, v[48:49]
	v_add_co_u32_e32 v60, vcc, s35, v6
	v_addc_co_u32_e32 v61, vcc, v52, v7, vcc
	global_load_dwordx4 v[22:25], v[18:19], off
	global_load_dwordx4 v[26:29], v[20:21], off
	;; [unrolled: 1-line block ×4, first 2 shown]
	global_load_dwordx4 v[6:9], v[18:19], off offset:16
	global_load_dwordx4 v[10:13], v[20:21], off offset:16
	;; [unrolled: 1-line block ×3, first 2 shown]
                                        ; kill: killed $vgpr18 killed $vgpr19
                                        ; kill: killed $vgpr58 killed $vgpr59
                                        ; kill: killed $vgpr20 killed $vgpr21
	s_nop 0
	global_load_dwordx4 v[18:21], v[60:61], off offset:16
	v_lshlrev_b64 v[44:45], 4, v[44:45]
	v_lshlrev_b64 v[46:47], 4, v[46:47]
	;; [unrolled: 1-line block ×3, first 2 shown]
	v_add_u32_e32 v57, -4, v57
	v_add_u32_e32 v5, 4, v5
	v_add_u32_e32 v4, 4, v4
	;; [unrolled: 1-line block ×4, first 2 shown]
	s_waitcnt vmcnt(7)
	v_lshlrev_b32_e32 v60, 16, v22
	s_waitcnt vmcnt(6)
	v_lshlrev_b32_e32 v61, 16, v26
	;; [unrolled: 2-line block ×4, first 2 shown]
	v_pk_mul_f32 v[58:59], v[40:41], v[58:59]
	v_rndne_f32_e32 v1, v58
	v_pk_mul_f32 v[60:61], v[38:39], v[60:61]
	v_rndne_f32_e32 v58, v59
	v_cmp_nge_f32_e64 s[6:7], s44, v1
	v_rndne_f32_e32 v59, v60
	v_cmp_nle_f32_e64 s[4:5], s43, v1
	v_cndmask_b32_e64 v1, v53, v1, s[6:7]
	v_cmp_nge_f32_e64 s[6:7], s44, v58
	v_rndne_f32_e32 v60, v61
	v_cmp_nle_f32_e64 s[2:3], s43, v58
	v_cndmask_b32_e64 v58, v53, v58, s[6:7]
	v_cmp_nge_f32_e64 s[6:7], s44, v59
	v_cmp_nle_f32_e64 s[0:1], s43, v59
	v_cndmask_b32_e64 v59, v53, v59, s[6:7]
	v_cmp_nge_f32_e64 s[6:7], s44, v60
	v_cmp_nle_f32_e32 vcc, s43, v60
	v_cndmask_b32_e64 v60, v53, v60, s[6:7]
	v_cvt_i32_f32_e32 v60, v60
	v_cvt_i32_f32_e32 v59, v59
	;; [unrolled: 1-line block ×4, first 2 shown]
	v_cndmask_b32_e32 v60, v54, v60, vcc
	v_cndmask_b32_e64 v59, v54, v59, s[0:1]
	v_cndmask_b32_e64 v58, v54, v58, s[2:3]
	v_add_u32_e32 v60, s40, v60
	v_add_u32_e32 v59, s29, v59
	;; [unrolled: 1-line block ×3, first 2 shown]
	v_med3_i32 v64, v58, s45, v55
	v_med3_i32 v58, v59, s45, v55
	;; [unrolled: 1-line block ×3, first 2 shown]
	v_and_b32_e32 v61, 0xffff0000, v34
	v_and_b32_e32 v60, 0xffff0000, v30
	;; [unrolled: 1-line block ×4, first 2 shown]
	v_pk_mul_f32 v[60:61], v[40:41], v[60:61]
	v_pk_mul_f32 v[62:63], v[38:39], v[62:63]
	v_rndne_f32_e32 v22, v60
	v_rndne_f32_e32 v26, v62
	v_cmp_nge_f32_e64 s[6:7], s44, v22
	v_cndmask_b32_e64 v1, v54, v1, s[4:5]
	v_rndne_f32_e32 v30, v63
	v_cmp_nle_f32_e64 s[4:5], s43, v22
	v_cndmask_b32_e64 v22, v53, v22, s[6:7]
	v_cmp_nge_f32_e64 s[6:7], s44, v26
	v_rndne_f32_e32 v34, v61
	v_cmp_nle_f32_e64 s[2:3], s43, v26
	v_cndmask_b32_e64 v26, v53, v26, s[6:7]
	v_cmp_nge_f32_e64 s[6:7], s44, v30
	v_cmp_nle_f32_e64 s[0:1], s43, v30
	v_cndmask_b32_e64 v30, v53, v30, s[6:7]
	v_cmp_nge_f32_e64 s[6:7], s44, v34
	v_cmp_nle_f32_e32 vcc, s43, v34
	v_cndmask_b32_e64 v34, v53, v34, s[6:7]
	v_cvt_i32_f32_e32 v30, v30
	v_cvt_i32_f32_e32 v34, v34
	;; [unrolled: 1-line block ×4, first 2 shown]
	v_cndmask_b32_e64 v30, v54, v30, s[0:1]
	v_lshlrev_b16_e32 v59, 8, v59
	v_cndmask_b32_e64 v26, v54, v26, s[2:3]
	v_cndmask_b32_e64 v22, v54, v22, s[4:5]
	v_cndmask_b32_e32 v34, v54, v34, vcc
	v_add_u32_e32 v30, s40, v30
	v_lshlrev_b32_e32 v61, 16, v35
	v_lshlrev_b32_e32 v60, 16, v31
	v_or_b32_sdwa v58, v58, v59 dst_sel:DWORD dst_unused:UNUSED_PAD src0_sel:BYTE_0 src1_sel:DWORD
	v_add_u32_e32 v34, s42, v34
	v_add_u32_e32 v59, s29, v26
	;; [unrolled: 1-line block ×3, first 2 shown]
	v_med3_i32 v30, v30, s45, v55
	v_pk_mul_f32 v[60:61], v[40:41], v[60:61]
	v_med3_i32 v26, v22, s45, v55
	v_med3_i32 v59, v59, s45, v55
	;; [unrolled: 1-line block ×3, first 2 shown]
	v_lshlrev_b16_e32 v30, 8, v30
	v_lshlrev_b32_e32 v63, 16, v27
	v_lshlrev_b32_e32 v62, 16, v23
	v_rndne_f32_e32 v34, v60
	v_or_b32_sdwa v30, v59, v30 dst_sel:DWORD dst_unused:UNUSED_PAD src0_sel:BYTE_0 src1_sel:DWORD
	v_pk_mul_f32 v[62:63], v[38:39], v[62:63]
	v_rndne_f32_e32 v59, v61
	v_cmp_nge_f32_e64 s[6:7], s44, v34
	v_rndne_f32_e32 v60, v62
	v_cmp_nle_f32_e64 s[4:5], s43, v34
	v_cndmask_b32_e64 v34, v53, v34, s[6:7]
	v_cmp_nge_f32_e64 s[6:7], s44, v59
	v_rndne_f32_e32 v61, v63
	v_cmp_nle_f32_e64 s[2:3], s43, v59
	v_cndmask_b32_e64 v59, v53, v59, s[6:7]
	v_cmp_nge_f32_e64 s[6:7], s44, v60
	v_cmp_nle_f32_e64 s[0:1], s43, v60
	v_cndmask_b32_e64 v60, v53, v60, s[6:7]
	v_cmp_nge_f32_e64 s[6:7], s44, v61
	v_cmp_nle_f32_e32 vcc, s43, v61
	v_cndmask_b32_e64 v61, v53, v61, s[6:7]
	v_cvt_i32_f32_e32 v61, v61
	v_cvt_i32_f32_e32 v60, v60
	;; [unrolled: 1-line block ×3, first 2 shown]
	v_lshlrev_b16_e32 v22, 8, v22
	v_cndmask_b32_e32 v61, v54, v61, vcc
	v_cndmask_b32_e64 v60, v54, v60, s[0:1]
	v_cndmask_b32_e64 v59, v54, v59, s[2:3]
	v_add_u32_e32 v61, s40, v61
	v_add_u32_e32 v60, s29, v60
	;; [unrolled: 1-line block ×3, first 2 shown]
	v_or_b32_sdwa v22, v64, v22 dst_sel:DWORD dst_unused:UNUSED_PAD src0_sel:BYTE_0 src1_sel:DWORD
	v_med3_i32 v64, v59, s45, v55
	v_med3_i32 v59, v60, s45, v55
	;; [unrolled: 1-line block ×3, first 2 shown]
	v_lshlrev_b16_e32 v60, 8, v60
	v_cvt_i32_f32_e32 v34, v34
	v_or_b32_sdwa v59, v59, v60 dst_sel:DWORD dst_unused:UNUSED_PAD src0_sel:BYTE_0 src1_sel:DWORD
	v_and_b32_e32 v61, 0xffff0000, v35
	v_and_b32_e32 v60, 0xffff0000, v31
	;; [unrolled: 1-line block ×4, first 2 shown]
	v_pk_mul_f32 v[60:61], v[40:41], v[60:61]
	v_pk_mul_f32 v[62:63], v[38:39], v[62:63]
	v_rndne_f32_e32 v23, v60
	v_rndne_f32_e32 v27, v62
	v_cmp_nge_f32_e64 s[6:7], s44, v23
	v_cndmask_b32_e64 v34, v54, v34, s[4:5]
	v_rndne_f32_e32 v31, v63
	v_cmp_nle_f32_e64 s[4:5], s43, v23
	v_cndmask_b32_e64 v23, v53, v23, s[6:7]
	v_cmp_nge_f32_e64 s[6:7], s44, v27
	v_cmp_nle_f32_e64 s[2:3], s43, v27
	v_cndmask_b32_e64 v27, v53, v27, s[6:7]
	v_cmp_nge_f32_e64 s[6:7], s44, v31
	v_cmp_nle_f32_e64 s[0:1], s43, v31
	v_cndmask_b32_e64 v31, v53, v31, s[6:7]
	v_cvt_i32_f32_e32 v31, v31
	v_rndne_f32_e32 v35, v61
	v_cvt_i32_f32_e32 v27, v27
	v_cmp_nge_f32_e64 s[6:7], s44, v35
	v_cmp_nle_f32_e32 vcc, s43, v35
	v_cndmask_b32_e64 v35, v53, v35, s[6:7]
	v_cvt_i32_f32_e32 v35, v35
	v_cvt_i32_f32_e32 v23, v23
	v_cndmask_b32_e64 v31, v54, v31, s[0:1]
	v_cndmask_b32_e64 v27, v54, v27, s[2:3]
	v_add_u32_e32 v31, s40, v31
	v_add_u32_e32 v60, s29, v27
	v_med3_i32 v31, v31, s45, v55
	v_med3_i32 v60, v60, s45, v55
	v_lshlrev_b16_e32 v31, 8, v31
	v_cndmask_b32_e64 v23, v54, v23, s[4:5]
	v_cndmask_b32_e32 v35, v54, v35, vcc
	v_or_b32_sdwa v31, v60, v31 dst_sel:DWORD dst_unused:UNUSED_PAD src0_sel:BYTE_0 src1_sel:DWORD
	v_lshlrev_b32_e32 v61, 16, v36
	v_lshlrev_b32_e32 v60, 16, v32
	v_add_u32_e32 v35, s42, v35
	v_add_u32_e32 v23, s41, v23
	v_pk_mul_f32 v[60:61], v[40:41], v[60:61]
	v_med3_i32 v27, v23, s45, v55
	v_med3_i32 v23, v35, s45, v55
	v_lshlrev_b32_e32 v63, 16, v28
	v_lshlrev_b32_e32 v62, 16, v24
	v_rndne_f32_e32 v35, v60
	v_pk_mul_f32 v[62:63], v[38:39], v[62:63]
	v_rndne_f32_e32 v60, v61
	v_cmp_nge_f32_e64 s[6:7], s44, v35
	v_rndne_f32_e32 v61, v62
	v_cmp_nle_f32_e64 s[4:5], s43, v35
	v_cndmask_b32_e64 v35, v53, v35, s[6:7]
	v_cmp_nge_f32_e64 s[6:7], s44, v60
	v_rndne_f32_e32 v62, v63
	v_cmp_nle_f32_e64 s[2:3], s43, v60
	v_cndmask_b32_e64 v60, v53, v60, s[6:7]
	v_cmp_nge_f32_e64 s[6:7], s44, v61
	v_cmp_nle_f32_e64 s[0:1], s43, v61
	v_cndmask_b32_e64 v61, v53, v61, s[6:7]
	v_cmp_nge_f32_e64 s[6:7], s44, v62
	v_cmp_nle_f32_e32 vcc, s43, v62
	v_cndmask_b32_e64 v62, v53, v62, s[6:7]
	v_cvt_i32_f32_e32 v62, v62
	v_cvt_i32_f32_e32 v61, v61
	;; [unrolled: 1-line block ×3, first 2 shown]
	v_lshlrev_b16_e32 v23, 8, v23
	v_cndmask_b32_e32 v62, v54, v62, vcc
	v_cndmask_b32_e64 v61, v54, v61, s[0:1]
	v_cndmask_b32_e64 v60, v54, v60, s[2:3]
	v_add_u32_e32 v62, s40, v62
	v_add_u32_e32 v61, s29, v61
	;; [unrolled: 1-line block ×3, first 2 shown]
	v_cvt_i32_f32_e32 v35, v35
	v_med3_i32 v66, v60, s45, v55
	v_med3_i32 v60, v61, s45, v55
	;; [unrolled: 1-line block ×3, first 2 shown]
	v_and_b32_e32 v63, 0xffff0000, v36
	v_and_b32_e32 v62, 0xffff0000, v32
	v_or_b32_sdwa v23, v64, v23 dst_sel:WORD_1 dst_unused:UNUSED_PAD src0_sel:BYTE_0 src1_sel:DWORD
	v_and_b32_e32 v65, 0xffff0000, v28
	v_and_b32_e32 v64, 0xffff0000, v24
	v_pk_mul_f32 v[62:63], v[40:41], v[62:63]
	v_pk_mul_f32 v[64:65], v[38:39], v[64:65]
	v_rndne_f32_e32 v24, v62
	v_rndne_f32_e32 v28, v64
	v_cmp_nge_f32_e64 s[6:7], s44, v24
	v_cndmask_b32_e64 v35, v54, v35, s[4:5]
	v_rndne_f32_e32 v32, v65
	v_cmp_nle_f32_e64 s[4:5], s43, v24
	v_cndmask_b32_e64 v24, v53, v24, s[6:7]
	v_cmp_nge_f32_e64 s[6:7], s44, v28
	v_rndne_f32_e32 v36, v63
	v_cmp_nle_f32_e64 s[2:3], s43, v28
	v_cndmask_b32_e64 v28, v53, v28, s[6:7]
	v_cmp_nge_f32_e64 s[6:7], s44, v32
	v_cmp_nle_f32_e64 s[0:1], s43, v32
	v_cndmask_b32_e64 v32, v53, v32, s[6:7]
	v_cmp_nge_f32_e64 s[6:7], s44, v36
	v_cmp_nle_f32_e32 vcc, s43, v36
	v_cndmask_b32_e64 v36, v53, v36, s[6:7]
	v_cvt_i32_f32_e32 v32, v32
	v_cvt_i32_f32_e32 v36, v36
	;; [unrolled: 1-line block ×4, first 2 shown]
	v_cndmask_b32_e64 v32, v54, v32, s[0:1]
	v_lshlrev_b16_e32 v61, 8, v61
	v_cndmask_b32_e64 v28, v54, v28, s[2:3]
	v_cndmask_b32_e64 v24, v54, v24, s[4:5]
	v_cndmask_b32_e32 v36, v54, v36, vcc
	v_add_u32_e32 v32, s40, v32
	v_lshlrev_b32_e32 v63, 16, v37
	v_lshlrev_b32_e32 v62, 16, v33
	v_or_b32_sdwa v60, v60, v61 dst_sel:DWORD dst_unused:UNUSED_PAD src0_sel:BYTE_0 src1_sel:DWORD
	v_add_u32_e32 v36, s42, v36
	v_add_u32_e32 v61, s29, v28
	;; [unrolled: 1-line block ×3, first 2 shown]
	v_med3_i32 v32, v32, s45, v55
	v_pk_mul_f32 v[62:63], v[40:41], v[62:63]
	v_med3_i32 v28, v24, s45, v55
	v_med3_i32 v61, v61, s45, v55
	;; [unrolled: 1-line block ×3, first 2 shown]
	v_lshlrev_b16_e32 v32, 8, v32
	v_lshlrev_b32_e32 v65, 16, v29
	v_lshlrev_b32_e32 v64, 16, v25
	v_rndne_f32_e32 v36, v62
	v_or_b32_sdwa v32, v61, v32 dst_sel:DWORD dst_unused:UNUSED_PAD src0_sel:BYTE_0 src1_sel:DWORD
	v_pk_mul_f32 v[64:65], v[38:39], v[64:65]
	v_rndne_f32_e32 v61, v63
	v_cmp_nge_f32_e64 s[6:7], s44, v36
	v_rndne_f32_e32 v62, v64
	v_cmp_nle_f32_e64 s[4:5], s43, v36
	v_cndmask_b32_e64 v36, v53, v36, s[6:7]
	v_cmp_nge_f32_e64 s[6:7], s44, v61
	v_rndne_f32_e32 v63, v65
	v_cmp_nle_f32_e64 s[2:3], s43, v61
	v_cndmask_b32_e64 v61, v53, v61, s[6:7]
	v_cmp_nge_f32_e64 s[6:7], s44, v62
	v_cmp_nle_f32_e64 s[0:1], s43, v62
	v_cndmask_b32_e64 v62, v53, v62, s[6:7]
	v_cmp_nge_f32_e64 s[6:7], s44, v63
	v_cmp_nle_f32_e32 vcc, s43, v63
	v_cndmask_b32_e64 v63, v53, v63, s[6:7]
	v_cvt_i32_f32_e32 v63, v63
	v_cvt_i32_f32_e32 v62, v62
	;; [unrolled: 1-line block ×3, first 2 shown]
	v_lshlrev_b16_e32 v24, 8, v24
	v_cndmask_b32_e32 v63, v54, v63, vcc
	v_cndmask_b32_e64 v62, v54, v62, s[0:1]
	v_cndmask_b32_e64 v61, v54, v61, s[2:3]
	v_add_u32_e32 v63, s40, v63
	v_add_u32_e32 v62, s29, v62
	;; [unrolled: 1-line block ×3, first 2 shown]
	v_or_b32_sdwa v24, v66, v24 dst_sel:DWORD dst_unused:UNUSED_PAD src0_sel:BYTE_0 src1_sel:DWORD
	v_med3_i32 v66, v61, s45, v55
	v_med3_i32 v61, v62, s45, v55
	;; [unrolled: 1-line block ×3, first 2 shown]
	v_lshlrev_b16_e32 v62, 8, v62
	v_cvt_i32_f32_e32 v36, v36
	v_or_b32_sdwa v61, v61, v62 dst_sel:DWORD dst_unused:UNUSED_PAD src0_sel:BYTE_0 src1_sel:DWORD
	v_and_b32_e32 v63, 0xffff0000, v37
	v_and_b32_e32 v62, 0xffff0000, v33
	;; [unrolled: 1-line block ×4, first 2 shown]
	v_pk_mul_f32 v[62:63], v[40:41], v[62:63]
	v_pk_mul_f32 v[64:65], v[38:39], v[64:65]
	v_rndne_f32_e32 v25, v62
	v_rndne_f32_e32 v29, v64
	v_cmp_nge_f32_e64 s[6:7], s44, v25
	v_cndmask_b32_e64 v36, v54, v36, s[4:5]
	v_rndne_f32_e32 v33, v65
	v_cmp_nle_f32_e64 s[4:5], s43, v25
	v_cndmask_b32_e64 v25, v53, v25, s[6:7]
	v_cmp_nge_f32_e64 s[6:7], s44, v29
	v_cmp_nle_f32_e64 s[2:3], s43, v29
	v_cndmask_b32_e64 v29, v53, v29, s[6:7]
	v_cmp_nge_f32_e64 s[6:7], s44, v33
	v_cmp_nle_f32_e64 s[0:1], s43, v33
	v_cndmask_b32_e64 v33, v53, v33, s[6:7]
	v_cvt_i32_f32_e32 v33, v33
	v_rndne_f32_e32 v37, v63
	v_cvt_i32_f32_e32 v29, v29
	v_cmp_nge_f32_e64 s[6:7], s44, v37
	v_cmp_nle_f32_e32 vcc, s43, v37
	v_cndmask_b32_e64 v37, v53, v37, s[6:7]
	v_cvt_i32_f32_e32 v37, v37
	v_cvt_i32_f32_e32 v25, v25
	v_cndmask_b32_e64 v33, v54, v33, s[0:1]
	v_cndmask_b32_e64 v29, v54, v29, s[2:3]
	v_add_u32_e32 v33, s40, v33
	v_add_u32_e32 v62, s29, v29
	v_med3_i32 v33, v33, s45, v55
	v_med3_i32 v62, v62, s45, v55
	v_lshlrev_b16_e32 v33, 8, v33
	v_cndmask_b32_e64 v25, v54, v25, s[4:5]
	v_cndmask_b32_e32 v37, v54, v37, vcc
	v_or_b32_sdwa v33, v62, v33 dst_sel:DWORD dst_unused:UNUSED_PAD src0_sel:BYTE_0 src1_sel:DWORD
	s_waitcnt vmcnt(0)
	v_lshlrev_b32_e32 v63, 16, v18
	v_lshlrev_b32_e32 v62, 16, v14
	v_add_u32_e32 v37, s42, v37
	v_add_u32_e32 v25, s41, v25
	v_pk_mul_f32 v[62:63], v[40:41], v[62:63]
	v_med3_i32 v29, v25, s45, v55
	v_med3_i32 v25, v37, s45, v55
	v_lshlrev_b32_e32 v65, 16, v10
	v_lshlrev_b32_e32 v64, 16, v6
	v_rndne_f32_e32 v37, v62
	v_pk_mul_f32 v[64:65], v[38:39], v[64:65]
	v_rndne_f32_e32 v62, v63
	v_cmp_nge_f32_e64 s[6:7], s44, v37
	v_rndne_f32_e32 v63, v64
	v_cmp_nle_f32_e64 s[4:5], s43, v37
	v_cndmask_b32_e64 v37, v53, v37, s[6:7]
	v_cmp_nge_f32_e64 s[6:7], s44, v62
	v_rndne_f32_e32 v64, v65
	v_cmp_nle_f32_e64 s[2:3], s43, v62
	v_cndmask_b32_e64 v62, v53, v62, s[6:7]
	v_cmp_nge_f32_e64 s[6:7], s44, v63
	v_cmp_nle_f32_e64 s[0:1], s43, v63
	v_cndmask_b32_e64 v63, v53, v63, s[6:7]
	v_cmp_nge_f32_e64 s[6:7], s44, v64
	v_cmp_nle_f32_e32 vcc, s43, v64
	v_cndmask_b32_e64 v64, v53, v64, s[6:7]
	v_cvt_i32_f32_e32 v64, v64
	v_cvt_i32_f32_e32 v63, v63
	;; [unrolled: 1-line block ×3, first 2 shown]
	v_lshlrev_b16_e32 v25, 8, v25
	v_cndmask_b32_e32 v64, v54, v64, vcc
	v_cndmask_b32_e64 v63, v54, v63, s[0:1]
	v_cndmask_b32_e64 v62, v54, v62, s[2:3]
	v_add_u32_e32 v64, s40, v64
	v_add_u32_e32 v63, s29, v63
	;; [unrolled: 1-line block ×3, first 2 shown]
	v_cvt_i32_f32_e32 v37, v37
	v_med3_i32 v68, v62, s45, v55
	v_med3_i32 v62, v63, s45, v55
	v_med3_i32 v63, v64, s45, v55
	v_and_b32_e32 v65, 0xffff0000, v18
	v_and_b32_e32 v64, 0xffff0000, v14
	v_or_b32_sdwa v25, v66, v25 dst_sel:WORD_1 dst_unused:UNUSED_PAD src0_sel:BYTE_0 src1_sel:DWORD
	v_and_b32_e32 v67, 0xffff0000, v10
	v_and_b32_e32 v66, 0xffff0000, v6
	v_pk_mul_f32 v[64:65], v[40:41], v[64:65]
	v_pk_mul_f32 v[66:67], v[38:39], v[66:67]
	v_rndne_f32_e32 v6, v64
	v_rndne_f32_e32 v10, v66
	v_cmp_nge_f32_e64 s[6:7], s44, v6
	v_cndmask_b32_e64 v37, v54, v37, s[4:5]
	v_rndne_f32_e32 v14, v67
	v_cmp_nle_f32_e64 s[4:5], s43, v6
	v_cndmask_b32_e64 v6, v53, v6, s[6:7]
	v_cmp_nge_f32_e64 s[6:7], s44, v10
	v_rndne_f32_e32 v18, v65
	v_cmp_nle_f32_e64 s[2:3], s43, v10
	v_cndmask_b32_e64 v10, v53, v10, s[6:7]
	v_cmp_nge_f32_e64 s[6:7], s44, v14
	v_cmp_nle_f32_e64 s[0:1], s43, v14
	v_cndmask_b32_e64 v14, v53, v14, s[6:7]
	v_cmp_nge_f32_e64 s[6:7], s44, v18
	v_cmp_nle_f32_e32 vcc, s43, v18
	v_cndmask_b32_e64 v18, v53, v18, s[6:7]
	v_cvt_i32_f32_e32 v14, v14
	v_cvt_i32_f32_e32 v18, v18
	;; [unrolled: 1-line block ×4, first 2 shown]
	v_cndmask_b32_e64 v14, v54, v14, s[0:1]
	v_lshlrev_b16_e32 v63, 8, v63
	v_cndmask_b32_e64 v10, v54, v10, s[2:3]
	v_cndmask_b32_e64 v6, v54, v6, s[4:5]
	v_cndmask_b32_e32 v18, v54, v18, vcc
	v_add_u32_e32 v14, s40, v14
	v_lshlrev_b32_e32 v65, 16, v19
	v_lshlrev_b32_e32 v64, 16, v15
	v_or_b32_sdwa v62, v62, v63 dst_sel:DWORD dst_unused:UNUSED_PAD src0_sel:BYTE_0 src1_sel:DWORD
	v_add_u32_e32 v18, s42, v18
	v_add_u32_e32 v63, s29, v10
	;; [unrolled: 1-line block ×3, first 2 shown]
	v_med3_i32 v14, v14, s45, v55
	v_pk_mul_f32 v[64:65], v[40:41], v[64:65]
	v_med3_i32 v10, v6, s45, v55
	v_med3_i32 v63, v63, s45, v55
	;; [unrolled: 1-line block ×3, first 2 shown]
	v_lshlrev_b16_e32 v14, 8, v14
	v_lshlrev_b32_e32 v67, 16, v11
	v_lshlrev_b32_e32 v66, 16, v7
	v_rndne_f32_e32 v18, v64
	v_or_b32_sdwa v14, v63, v14 dst_sel:DWORD dst_unused:UNUSED_PAD src0_sel:BYTE_0 src1_sel:DWORD
	v_pk_mul_f32 v[66:67], v[38:39], v[66:67]
	v_rndne_f32_e32 v63, v65
	v_cmp_nge_f32_e64 s[6:7], s44, v18
	v_rndne_f32_e32 v64, v66
	v_cmp_nle_f32_e64 s[4:5], s43, v18
	v_cndmask_b32_e64 v18, v53, v18, s[6:7]
	v_cmp_nge_f32_e64 s[6:7], s44, v63
	v_rndne_f32_e32 v65, v67
	v_cmp_nle_f32_e64 s[2:3], s43, v63
	v_cndmask_b32_e64 v63, v53, v63, s[6:7]
	v_cmp_nge_f32_e64 s[6:7], s44, v64
	v_cmp_nle_f32_e64 s[0:1], s43, v64
	v_cndmask_b32_e64 v64, v53, v64, s[6:7]
	v_cmp_nge_f32_e64 s[6:7], s44, v65
	v_cmp_nle_f32_e32 vcc, s43, v65
	v_cndmask_b32_e64 v65, v53, v65, s[6:7]
	v_cvt_i32_f32_e32 v65, v65
	v_cvt_i32_f32_e32 v64, v64
	v_cvt_i32_f32_e32 v63, v63
	v_lshlrev_b16_e32 v6, 8, v6
	v_cndmask_b32_e32 v65, v54, v65, vcc
	v_cndmask_b32_e64 v64, v54, v64, s[0:1]
	v_cndmask_b32_e64 v63, v54, v63, s[2:3]
	v_add_u32_e32 v65, s40, v65
	v_add_u32_e32 v64, s29, v64
	;; [unrolled: 1-line block ×3, first 2 shown]
	v_or_b32_sdwa v6, v68, v6 dst_sel:DWORD dst_unused:UNUSED_PAD src0_sel:BYTE_0 src1_sel:DWORD
	v_med3_i32 v68, v63, s45, v55
	v_med3_i32 v63, v64, s45, v55
	v_med3_i32 v64, v65, s45, v55
	v_lshlrev_b16_e32 v64, 8, v64
	v_cvt_i32_f32_e32 v18, v18
	v_or_b32_sdwa v63, v63, v64 dst_sel:DWORD dst_unused:UNUSED_PAD src0_sel:BYTE_0 src1_sel:DWORD
	v_and_b32_e32 v65, 0xffff0000, v19
	v_and_b32_e32 v64, 0xffff0000, v15
	;; [unrolled: 1-line block ×4, first 2 shown]
	v_pk_mul_f32 v[64:65], v[40:41], v[64:65]
	v_pk_mul_f32 v[66:67], v[38:39], v[66:67]
	v_rndne_f32_e32 v7, v64
	v_rndne_f32_e32 v11, v66
	v_cmp_nge_f32_e64 s[6:7], s44, v7
	v_cndmask_b32_e64 v18, v54, v18, s[4:5]
	v_rndne_f32_e32 v15, v67
	v_cmp_nle_f32_e64 s[4:5], s43, v7
	v_cndmask_b32_e64 v7, v53, v7, s[6:7]
	v_cmp_nge_f32_e64 s[6:7], s44, v11
	v_cmp_nle_f32_e64 s[2:3], s43, v11
	v_cndmask_b32_e64 v11, v53, v11, s[6:7]
	v_cmp_nge_f32_e64 s[6:7], s44, v15
	v_cmp_nle_f32_e64 s[0:1], s43, v15
	v_cndmask_b32_e64 v15, v53, v15, s[6:7]
	v_cvt_i32_f32_e32 v15, v15
	v_rndne_f32_e32 v19, v65
	v_cvt_i32_f32_e32 v11, v11
	v_cmp_nge_f32_e64 s[6:7], s44, v19
	v_cmp_nle_f32_e32 vcc, s43, v19
	v_cndmask_b32_e64 v19, v53, v19, s[6:7]
	v_cvt_i32_f32_e32 v19, v19
	v_cvt_i32_f32_e32 v7, v7
	v_cndmask_b32_e64 v15, v54, v15, s[0:1]
	v_cndmask_b32_e64 v11, v54, v11, s[2:3]
	v_add_u32_e32 v15, s40, v15
	v_add_u32_e32 v64, s29, v11
	v_med3_i32 v15, v15, s45, v55
	v_med3_i32 v64, v64, s45, v55
	v_lshlrev_b16_e32 v15, 8, v15
	v_cndmask_b32_e64 v7, v54, v7, s[4:5]
	v_cndmask_b32_e32 v19, v54, v19, vcc
	v_or_b32_sdwa v15, v64, v15 dst_sel:DWORD dst_unused:UNUSED_PAD src0_sel:BYTE_0 src1_sel:DWORD
	v_lshlrev_b32_e32 v65, 16, v20
	v_lshlrev_b32_e32 v64, 16, v16
	v_add_u32_e32 v19, s42, v19
	v_add_u32_e32 v7, s41, v7
	v_pk_mul_f32 v[64:65], v[40:41], v[64:65]
	v_med3_i32 v11, v7, s45, v55
	v_med3_i32 v7, v19, s45, v55
	v_lshlrev_b32_e32 v67, 16, v12
	v_lshlrev_b32_e32 v66, 16, v8
	v_rndne_f32_e32 v19, v64
	v_pk_mul_f32 v[66:67], v[38:39], v[66:67]
	v_rndne_f32_e32 v64, v65
	v_cmp_nge_f32_e64 s[6:7], s44, v19
	v_rndne_f32_e32 v65, v66
	v_cmp_nle_f32_e64 s[4:5], s43, v19
	v_cndmask_b32_e64 v19, v53, v19, s[6:7]
	v_cmp_nge_f32_e64 s[6:7], s44, v64
	v_rndne_f32_e32 v66, v67
	v_cmp_nle_f32_e64 s[2:3], s43, v64
	v_cndmask_b32_e64 v64, v53, v64, s[6:7]
	v_cmp_nge_f32_e64 s[6:7], s44, v65
	v_cmp_nle_f32_e64 s[0:1], s43, v65
	v_cndmask_b32_e64 v65, v53, v65, s[6:7]
	v_cmp_nge_f32_e64 s[6:7], s44, v66
	v_cmp_nle_f32_e32 vcc, s43, v66
	v_cndmask_b32_e64 v66, v53, v66, s[6:7]
	v_cvt_i32_f32_e32 v66, v66
	v_cvt_i32_f32_e32 v65, v65
	;; [unrolled: 1-line block ×3, first 2 shown]
	v_lshlrev_b16_e32 v7, 8, v7
	v_cndmask_b32_e32 v66, v54, v66, vcc
	v_cndmask_b32_e64 v65, v54, v65, s[0:1]
	v_cndmask_b32_e64 v64, v54, v64, s[2:3]
	v_add_u32_e32 v66, s40, v66
	v_add_u32_e32 v65, s29, v65
	;; [unrolled: 1-line block ×3, first 2 shown]
	v_cvt_i32_f32_e32 v19, v19
	v_med3_i32 v70, v64, s45, v55
	v_med3_i32 v64, v65, s45, v55
	;; [unrolled: 1-line block ×3, first 2 shown]
	v_and_b32_e32 v67, 0xffff0000, v20
	v_and_b32_e32 v66, 0xffff0000, v16
	v_or_b32_sdwa v7, v68, v7 dst_sel:WORD_1 dst_unused:UNUSED_PAD src0_sel:BYTE_0 src1_sel:DWORD
	v_and_b32_e32 v69, 0xffff0000, v12
	v_and_b32_e32 v68, 0xffff0000, v8
	v_pk_mul_f32 v[66:67], v[40:41], v[66:67]
	v_pk_mul_f32 v[68:69], v[38:39], v[68:69]
	v_rndne_f32_e32 v8, v66
	v_rndne_f32_e32 v12, v68
	v_cmp_nge_f32_e64 s[6:7], s44, v8
	v_cndmask_b32_e64 v19, v54, v19, s[4:5]
	v_rndne_f32_e32 v16, v69
	v_cmp_nle_f32_e64 s[4:5], s43, v8
	v_cndmask_b32_e64 v8, v53, v8, s[6:7]
	v_cmp_nge_f32_e64 s[6:7], s44, v12
	v_rndne_f32_e32 v20, v67
	v_cmp_nle_f32_e64 s[2:3], s43, v12
	v_cndmask_b32_e64 v12, v53, v12, s[6:7]
	v_cmp_nge_f32_e64 s[6:7], s44, v16
	v_cmp_nle_f32_e64 s[0:1], s43, v16
	v_cndmask_b32_e64 v16, v53, v16, s[6:7]
	v_cmp_nge_f32_e64 s[6:7], s44, v20
	v_cmp_nle_f32_e32 vcc, s43, v20
	v_cndmask_b32_e64 v20, v53, v20, s[6:7]
	v_cvt_i32_f32_e32 v16, v16
	v_cvt_i32_f32_e32 v20, v20
	;; [unrolled: 1-line block ×4, first 2 shown]
	v_cndmask_b32_e64 v16, v54, v16, s[0:1]
	v_lshlrev_b16_e32 v65, 8, v65
	v_cndmask_b32_e64 v12, v54, v12, s[2:3]
	v_cndmask_b32_e64 v8, v54, v8, s[4:5]
	v_cndmask_b32_e32 v20, v54, v20, vcc
	v_add_u32_e32 v16, s40, v16
	v_lshlrev_b32_e32 v67, 16, v21
	v_lshlrev_b32_e32 v66, 16, v17
	v_or_b32_sdwa v64, v64, v65 dst_sel:DWORD dst_unused:UNUSED_PAD src0_sel:BYTE_0 src1_sel:DWORD
	v_add_u32_e32 v20, s42, v20
	v_add_u32_e32 v65, s29, v12
	;; [unrolled: 1-line block ×3, first 2 shown]
	v_med3_i32 v16, v16, s45, v55
	v_pk_mul_f32 v[66:67], v[40:41], v[66:67]
	v_med3_i32 v12, v8, s45, v55
	v_med3_i32 v65, v65, s45, v55
	;; [unrolled: 1-line block ×3, first 2 shown]
	v_lshlrev_b16_e32 v16, 8, v16
	v_lshlrev_b32_e32 v69, 16, v13
	v_lshlrev_b32_e32 v68, 16, v9
	v_rndne_f32_e32 v20, v66
	v_or_b32_sdwa v16, v65, v16 dst_sel:DWORD dst_unused:UNUSED_PAD src0_sel:BYTE_0 src1_sel:DWORD
	v_pk_mul_f32 v[68:69], v[38:39], v[68:69]
	v_rndne_f32_e32 v65, v67
	v_cmp_nge_f32_e64 s[6:7], s44, v20
	v_rndne_f32_e32 v66, v68
	v_cmp_nle_f32_e64 s[4:5], s43, v20
	v_cndmask_b32_e64 v20, v53, v20, s[6:7]
	v_cmp_nge_f32_e64 s[6:7], s44, v65
	v_rndne_f32_e32 v67, v69
	v_cmp_nle_f32_e64 s[2:3], s43, v65
	v_cndmask_b32_e64 v65, v53, v65, s[6:7]
	v_cmp_nge_f32_e64 s[6:7], s44, v66
	v_cmp_nle_f32_e64 s[0:1], s43, v66
	v_cndmask_b32_e64 v66, v53, v66, s[6:7]
	v_cmp_nge_f32_e64 s[6:7], s44, v67
	v_cmp_nle_f32_e32 vcc, s43, v67
	v_cndmask_b32_e64 v67, v53, v67, s[6:7]
	v_cvt_i32_f32_e32 v67, v67
	v_cvt_i32_f32_e32 v66, v66
	v_cvt_i32_f32_e32 v65, v65
	v_lshlrev_b16_e32 v8, 8, v8
	v_cndmask_b32_e32 v67, v54, v67, vcc
	v_cndmask_b32_e64 v66, v54, v66, s[0:1]
	v_cndmask_b32_e64 v65, v54, v65, s[2:3]
	v_add_u32_e32 v67, s40, v67
	v_add_u32_e32 v66, s29, v66
	;; [unrolled: 1-line block ×3, first 2 shown]
	v_or_b32_sdwa v8, v70, v8 dst_sel:DWORD dst_unused:UNUSED_PAD src0_sel:BYTE_0 src1_sel:DWORD
	v_med3_i32 v70, v65, s45, v55
	v_med3_i32 v65, v66, s45, v55
	;; [unrolled: 1-line block ×3, first 2 shown]
	v_lshlrev_b16_e32 v66, 8, v66
	v_cvt_i32_f32_e32 v20, v20
	v_or_b32_sdwa v65, v65, v66 dst_sel:DWORD dst_unused:UNUSED_PAD src0_sel:BYTE_0 src1_sel:DWORD
	v_and_b32_e32 v67, 0xffff0000, v21
	v_and_b32_e32 v66, 0xffff0000, v17
	;; [unrolled: 1-line block ×4, first 2 shown]
	v_pk_mul_f32 v[66:67], v[40:41], v[66:67]
	v_pk_mul_f32 v[68:69], v[38:39], v[68:69]
	v_rndne_f32_e32 v9, v66
	v_rndne_f32_e32 v13, v68
	v_cmp_nge_f32_e64 s[6:7], s44, v9
	v_cndmask_b32_e64 v20, v54, v20, s[4:5]
	v_rndne_f32_e32 v17, v69
	v_cmp_nle_f32_e64 s[4:5], s43, v9
	v_cndmask_b32_e64 v9, v53, v9, s[6:7]
	v_cmp_nge_f32_e64 s[6:7], s44, v13
	v_rndne_f32_e32 v21, v67
	v_cmp_nle_f32_e64 s[2:3], s43, v13
	v_cndmask_b32_e64 v13, v53, v13, s[6:7]
	v_cmp_nge_f32_e64 s[6:7], s44, v17
	v_cmp_nle_f32_e64 s[0:1], s43, v17
	v_cndmask_b32_e64 v17, v53, v17, s[6:7]
	v_cmp_nge_f32_e64 s[6:7], s44, v21
	v_cmp_nle_f32_e32 vcc, s43, v21
	v_cndmask_b32_e64 v21, v53, v21, s[6:7]
	v_cvt_i32_f32_e32 v21, v21
	v_cvt_i32_f32_e32 v17, v17
	;; [unrolled: 1-line block ×3, first 2 shown]
	v_lshlrev_b64 v[66:67], 4, v[42:43]
	v_cndmask_b32_e32 v21, v54, v21, vcc
	v_cndmask_b32_e64 v17, v54, v17, s[0:1]
	v_add_co_u32_e32 v66, vcc, s36, v66
	v_cndmask_b32_e64 v13, v54, v13, s[2:3]
	v_add_u32_e32 v17, s40, v17
	v_addc_co_u32_e32 v67, vcc, v56, v67, vcc
	v_add_u32_e32 v13, s29, v13
	v_med3_i32 v17, v17, s45, v55
	v_add_co_u32_e32 v44, vcc, s36, v44
	v_add_u32_e32 v1, s41, v1
	v_and_b32_e32 v58, 0xffff, v58
	v_med3_i32 v13, v13, s45, v55
	v_lshlrev_b16_e32 v17, 8, v17
	v_addc_co_u32_e32 v45, vcc, v56, v45, vcc
	v_med3_i32 v1, v1, s45, v55
	v_and_b32_e32 v30, 0xffff, v30
	v_or_b32_sdwa v13, v13, v17 dst_sel:DWORD dst_unused:UNUSED_PAD src0_sel:BYTE_0 src1_sel:DWORD
	v_add_co_u32_e32 v46, vcc, s36, v46
	v_lshrrev_b32_e32 v17, 8, v58
	v_and_b32_e32 v59, 0xffff, v59
	v_addc_co_u32_e32 v47, vcc, v56, v47, vcc
	global_store_byte v[66:67], v58, off
	global_store_byte v[44:45], v17, off
	;; [unrolled: 1-line block ×3, first 2 shown]
	global_store_byte v[66:67], v30, off offset:1
	v_lshrrev_b32_e32 v1, 8, v30
	v_add_u32_e32 v34, s41, v34
	v_and_b32_e32 v31, 0xffff, v31
	global_store_byte v[44:45], v1, off offset:1
	global_store_byte v[46:47], v26, off offset:1
	global_store_byte v[66:67], v59, off offset:2
	v_lshrrev_b32_e32 v1, 8, v59
	v_med3_i32 v34, v34, s45, v55
	v_and_b32_e32 v60, 0xffff, v60
	global_store_byte v[44:45], v1, off offset:2
	global_store_byte v[46:47], v34, off offset:2
	global_store_byte v[66:67], v31, off offset:3
	v_lshrrev_b32_e32 v1, 8, v31
	v_add_u32_e32 v35, s41, v35
	v_and_b32_e32 v32, 0xffff, v32
	global_store_byte v[44:45], v1, off offset:3
	global_store_byte v[46:47], v27, off offset:3
	global_store_byte v[66:67], v60, off offset:4
	v_lshrrev_b32_e32 v1, 8, v60
	v_med3_i32 v35, v35, s45, v55
	v_and_b32_e32 v61, 0xffff, v61
	global_store_byte v[44:45], v1, off offset:4
	global_store_byte v[46:47], v35, off offset:4
	;; [unrolled: 12-line block ×3, first 2 shown]
	global_store_byte v[66:67], v33, off offset:7
	v_lshrrev_b32_e32 v1, 8, v33
	v_add_u32_e32 v37, s41, v37
	v_and_b32_e32 v14, 0xffff, v14
	global_store_byte v[44:45], v1, off offset:7
	global_store_byte v[46:47], v29, off offset:7
	;; [unrolled: 1-line block ×3, first 2 shown]
	v_lshrrev_b32_e32 v1, 8, v62
	v_med3_i32 v37, v37, s45, v55
	v_and_b32_e32 v63, 0xffff, v63
	v_cvt_i32_f32_e32 v9, v9
	global_store_byte v[44:45], v1, off offset:8
	global_store_byte v[46:47], v37, off offset:8
	;; [unrolled: 1-line block ×3, first 2 shown]
	v_lshrrev_b32_e32 v1, 8, v14
	v_add_u32_e32 v18, s41, v18
	v_and_b32_e32 v15, 0xffff, v15
	global_store_byte v[44:45], v1, off offset:9
	global_store_byte v[46:47], v10, off offset:9
	;; [unrolled: 1-line block ×3, first 2 shown]
	v_lshrrev_b32_e32 v1, 8, v63
	v_med3_i32 v18, v18, s45, v55
	v_and_b32_e32 v64, 0xffff, v64
	global_store_byte v[44:45], v1, off offset:10
	global_store_byte v[46:47], v18, off offset:10
	;; [unrolled: 1-line block ×3, first 2 shown]
	v_lshrrev_b32_e32 v1, 8, v15
	v_add_u32_e32 v19, s41, v19
	v_and_b32_e32 v16, 0xffff, v16
	v_add_u32_e32 v21, s42, v21
	global_store_byte v[44:45], v1, off offset:11
	global_store_byte v[46:47], v11, off offset:11
	;; [unrolled: 1-line block ×3, first 2 shown]
	v_lshrrev_b32_e32 v1, 8, v64
	v_med3_i32 v19, v19, s45, v55
	v_and_b32_e32 v65, 0xffff, v65
	v_cndmask_b32_e64 v9, v54, v9, s[4:5]
	v_med3_i32 v21, v21, s45, v55
	v_add_co_u32_e32 v48, vcc, s36, v48
	global_store_byte v[44:45], v1, off offset:12
	global_store_byte v[46:47], v19, off offset:12
	global_store_byte v[66:67], v16, off offset:13
	v_lshrrev_b32_e32 v1, 8, v16
	v_add_u32_e32 v20, s41, v20
	v_add_u32_e32 v9, s41, v9
	v_lshlrev_b16_e32 v21, 8, v21
	v_and_b32_e32 v13, 0xffff, v13
	v_addc_co_u32_e32 v49, vcc, v56, v49, vcc
	global_store_byte v[44:45], v1, off offset:13
	global_store_byte v[46:47], v12, off offset:13
	;; [unrolled: 1-line block ×3, first 2 shown]
	v_lshrrev_b32_e32 v1, 8, v65
	v_med3_i32 v20, v20, s45, v55
	v_med3_i32 v9, v9, s45, v55
	v_or_b32_sdwa v21, v70, v21 dst_sel:WORD_1 dst_unused:UNUSED_PAD src0_sel:BYTE_0 src1_sel:DWORD
	global_store_byte v[44:45], v1, off offset:14
	global_store_byte v[46:47], v20, off offset:14
	;; [unrolled: 1-line block ×3, first 2 shown]
	v_lshrrev_b32_e32 v1, 8, v13
	v_cmp_eq_u32_e32 vcc, 0, v57
	global_store_byte v[44:45], v1, off offset:15
	global_store_byte v[46:47], v9, off offset:15
	v_or_b32_sdwa v9, v8, v21 dst_sel:DWORD dst_unused:UNUSED_PAD src0_sel:WORD_0 src1_sel:DWORD
	v_or_b32_sdwa v8, v6, v7 dst_sel:DWORD dst_unused:UNUSED_PAD src0_sel:WORD_0 src1_sel:DWORD
	;; [unrolled: 1-line block ×4, first 2 shown]
	s_or_b64 s[26:27], vcc, s[26:27]
	global_store_dwordx4 v[48:49], v[6:9], off
	s_andn2_b64 exec, exec, s[26:27]
	s_cbranch_execnz .LBB5_16
; %bb.17:
	s_or_b64 exec, exec, s[26:27]
	v_cmp_ne_u32_e32 vcc, v50, v51
	v_add_u32_e32 v10, v0, v51
	s_orn2_b64 s[0:1], vcc, exec
.LBB5_18:
	s_or_b64 exec, exec, s[24:25]
	s_and_b64 exec, exec, s[0:1]
	s_cbranch_execz .LBB5_85
; %bb.19:
	s_add_u32 s0, s18, s14
	s_addc_u32 s1, s19, s15
	v_mov_b32_e32 v11, 0
	s_add_u32 s0, s10, s0
	v_lshlrev_b64 v[2:3], 4, v[10:11]
	s_addc_u32 s1, s11, s1
	s_lshl_b32 s7, s28, 4
	v_add_co_u32_e32 v12, vcc, s0, v2
	s_add_u32 s0, s8, s20
	v_mov_b32_e32 v1, s1
	s_addc_u32 s1, s9, s21
	s_add_u32 s0, s0, s12
	v_addc_co_u32_e32 v13, vcc, v1, v3, vcc
	v_lshlrev_b64 v[2:3], 5, v[10:11]
	s_addc_u32 s1, s1, s13
	s_mov_b32 s6, 0
	v_mov_b32_e32 v1, s1
	v_add_co_u32_e32 v14, vcc, s0, v2
	v_addc_co_u32_e32 v15, vcc, v1, v3, vcc
	s_lshl_b32 s24, s28, 5
	s_mov_b32 s25, s6
	s_mov_b64 s[0:1], 0
	s_mov_b32 s26, 0x4f000000
	s_mov_b32 s27, 0xcf000000
	s_movk_i32 s40, 0xff80
	v_mov_b32_e32 v1, 0x7f
	s_branch .LBB5_22
.LBB5_20:                               ;   in Loop: Header=BB5_22 Depth=1
	s_or_b64 exec, exec, s[4:5]
.LBB5_21:                               ;   in Loop: Header=BB5_22 Depth=1
	s_or_b64 exec, exec, s[2:3]
	v_add_u32_e32 v22, s29, v22
	v_add_u32_e32 v4, s29, v4
	;; [unrolled: 1-line block ×3, first 2 shown]
	v_med3_i32 v22, v22, s40, v1
	v_add_u32_e32 v3, s29, v3
	v_med3_i32 v4, v4, s40, v1
	v_med3_i32 v5, v5, s40, v1
	;; [unrolled: 1-line block ×3, first 2 shown]
	v_add_u32_e32 v21, s29, v21
	v_add_u32_e32 v20, s29, v20
	v_lshlrev_b16_e32 v22, 8, v22
	v_lshlrev_b16_e32 v4, 8, v4
	v_med3_i32 v21, v21, s40, v1
	v_add_u32_e32 v2, s29, v2
	v_med3_i32 v20, v20, s40, v1
	v_add_u32_e32 v9, s29, v9
	v_or_b32_sdwa v3, v3, v22 dst_sel:DWORD dst_unused:UNUSED_PAD src0_sel:BYTE_0 src1_sel:DWORD
	v_or_b32_sdwa v4, v5, v4 dst_sel:WORD_1 dst_unused:UNUSED_PAD src0_sel:BYTE_0 src1_sel:DWORD
	v_med3_i32 v2, v2, s40, v1
	v_med3_i32 v9, v9, s40, v1
	v_add_u32_e32 v19, s29, v19
	v_add_u32_e32 v18, s29, v18
	v_or_b32_sdwa v5, v3, v4 dst_sel:DWORD dst_unused:UNUSED_PAD src0_sel:WORD_0 src1_sel:DWORD
	v_lshlrev_b16_e32 v3, 8, v20
	v_lshlrev_b16_e32 v4, 8, v21
	v_med3_i32 v19, v19, s40, v1
	v_add_u32_e32 v8, s29, v8
	v_med3_i32 v18, v18, s40, v1
	v_add_u32_e32 v7, s29, v7
	v_or_b32_sdwa v3, v9, v3 dst_sel:DWORD dst_unused:UNUSED_PAD src0_sel:BYTE_0 src1_sel:DWORD
	v_or_b32_sdwa v2, v2, v4 dst_sel:WORD_1 dst_unused:UNUSED_PAD src0_sel:BYTE_0 src1_sel:DWORD
	v_med3_i32 v8, v8, s40, v1
	v_med3_i32 v7, v7, s40, v1
	v_add_u32_e32 v17, s29, v17
	v_add_u32_e32 v11, s29, v11
	v_or_b32_sdwa v4, v3, v2 dst_sel:DWORD dst_unused:UNUSED_PAD src0_sel:WORD_0 src1_sel:DWORD
	v_lshlrev_b16_e32 v2, 8, v18
	v_lshlrev_b16_e32 v3, 8, v19
	v_med3_i32 v17, v17, s40, v1
	v_add_u32_e32 v6, s29, v6
	v_med3_i32 v11, v11, s40, v1
	v_add_u32_e32 v16, s29, v16
	v_or_b32_sdwa v2, v7, v2 dst_sel:DWORD dst_unused:UNUSED_PAD src0_sel:BYTE_0 src1_sel:DWORD
	v_or_b32_sdwa v3, v8, v3 dst_sel:WORD_1 dst_unused:UNUSED_PAD src0_sel:BYTE_0 src1_sel:DWORD
	v_med3_i32 v6, v6, s40, v1
	v_med3_i32 v16, v16, s40, v1
	v_or_b32_sdwa v3, v2, v3 dst_sel:DWORD dst_unused:UNUSED_PAD src0_sel:WORD_0 src1_sel:DWORD
	v_lshlrev_b16_e32 v2, 8, v11
	v_lshlrev_b16_e32 v7, 8, v17
	v_or_b32_sdwa v2, v16, v2 dst_sel:DWORD dst_unused:UNUSED_PAD src0_sel:BYTE_0 src1_sel:DWORD
	v_or_b32_sdwa v6, v6, v7 dst_sel:WORD_1 dst_unused:UNUSED_PAD src0_sel:BYTE_0 src1_sel:DWORD
	v_or_b32_sdwa v2, v2, v6 dst_sel:DWORD dst_unused:UNUSED_PAD src0_sel:WORD_0 src1_sel:DWORD
	global_store_dwordx4 v[12:13], v[2:5], off
	v_add_co_u32_e32 v12, vcc, s7, v12
	v_mov_b32_e32 v2, s6
	v_add_u32_e32 v10, s28, v10
	v_addc_co_u32_e32 v13, vcc, v13, v2, vcc
	v_cmp_le_i32_e32 vcc, s39, v10
	v_mov_b32_e32 v2, s25
	s_or_b64 s[0:1], vcc, s[0:1]
	v_add_co_u32_e32 v14, vcc, s24, v14
	v_addc_co_u32_e32 v15, vcc, v15, v2, vcc
	s_andn2_b64 exec, exec, s[0:1]
	s_cbranch_execz .LBB5_85
.LBB5_22:                               ; =>This Inner Loop Header: Depth=1
	global_load_dwordx4 v[6:9], v[14:15], off
	global_load_dwordx4 v[2:5], v[14:15], off offset:16
	v_bfrev_b32_e32 v11, -2
	s_waitcnt vmcnt(1)
	v_lshlrev_b32_e32 v16, 16, v6
	v_mul_f32_e32 v16, v38, v16
	v_rndne_f32_e32 v17, v16
	v_cmp_nle_f32_e32 vcc, s26, v17
	v_bfrev_b32_e32 v16, -2
	s_and_saveexec_b64 s[2:3], vcc
	s_cbranch_execz .LBB5_26
; %bb.23:                               ;   in Loop: Header=BB5_22 Depth=1
	v_cmp_nge_f32_e32 vcc, s27, v17
	v_bfrev_b32_e32 v16, 1
	s_and_saveexec_b64 s[4:5], vcc
; %bb.24:                               ;   in Loop: Header=BB5_22 Depth=1
	v_cvt_i32_f32_e32 v16, v17
; %bb.25:                               ;   in Loop: Header=BB5_22 Depth=1
	s_or_b64 exec, exec, s[4:5]
.LBB5_26:                               ;   in Loop: Header=BB5_22 Depth=1
	s_or_b64 exec, exec, s[2:3]
	v_and_b32_e32 v6, 0xffff0000, v6
	v_mul_f32_e32 v6, v38, v6
	v_rndne_f32_e32 v6, v6
	v_cmp_nle_f32_e32 vcc, s26, v6
	s_and_saveexec_b64 s[2:3], vcc
	s_cbranch_execz .LBB5_30
; %bb.27:                               ;   in Loop: Header=BB5_22 Depth=1
	v_cmp_nge_f32_e32 vcc, s27, v6
	v_bfrev_b32_e32 v11, 1
	s_and_saveexec_b64 s[4:5], vcc
; %bb.28:                               ;   in Loop: Header=BB5_22 Depth=1
	v_cvt_i32_f32_e32 v11, v6
; %bb.29:                               ;   in Loop: Header=BB5_22 Depth=1
	s_or_b64 exec, exec, s[4:5]
.LBB5_30:                               ;   in Loop: Header=BB5_22 Depth=1
	s_or_b64 exec, exec, s[2:3]
	v_lshlrev_b32_e32 v6, 16, v7
	v_mul_f32_e32 v6, v38, v6
	v_rndne_f32_e32 v18, v6
	v_cmp_nle_f32_e32 vcc, s26, v18
	v_bfrev_b32_e32 v17, -2
	v_bfrev_b32_e32 v6, -2
	s_and_saveexec_b64 s[2:3], vcc
	s_cbranch_execz .LBB5_34
; %bb.31:                               ;   in Loop: Header=BB5_22 Depth=1
	v_cmp_nge_f32_e32 vcc, s27, v18
	v_bfrev_b32_e32 v6, 1
	s_and_saveexec_b64 s[4:5], vcc
; %bb.32:                               ;   in Loop: Header=BB5_22 Depth=1
	v_cvt_i32_f32_e32 v6, v18
; %bb.33:                               ;   in Loop: Header=BB5_22 Depth=1
	s_or_b64 exec, exec, s[4:5]
.LBB5_34:                               ;   in Loop: Header=BB5_22 Depth=1
	s_or_b64 exec, exec, s[2:3]
	v_and_b32_e32 v7, 0xffff0000, v7
	v_mul_f32_e32 v7, v38, v7
	v_rndne_f32_e32 v7, v7
	v_cmp_nle_f32_e32 vcc, s26, v7
	s_and_saveexec_b64 s[2:3], vcc
	s_cbranch_execz .LBB5_38
; %bb.35:                               ;   in Loop: Header=BB5_22 Depth=1
	v_cmp_nge_f32_e32 vcc, s27, v7
	v_bfrev_b32_e32 v17, 1
	s_and_saveexec_b64 s[4:5], vcc
; %bb.36:                               ;   in Loop: Header=BB5_22 Depth=1
	v_cvt_i32_f32_e32 v17, v7
; %bb.37:                               ;   in Loop: Header=BB5_22 Depth=1
	s_or_b64 exec, exec, s[4:5]
.LBB5_38:                               ;   in Loop: Header=BB5_22 Depth=1
	s_or_b64 exec, exec, s[2:3]
	v_lshlrev_b32_e32 v7, 16, v8
	v_mul_f32_e32 v7, v38, v7
	v_rndne_f32_e32 v19, v7
	v_cmp_nle_f32_e32 vcc, s26, v19
	v_bfrev_b32_e32 v18, -2
	;; [unrolled: 34-line block ×3, first 2 shown]
	v_bfrev_b32_e32 v8, -2
	s_and_saveexec_b64 s[2:3], vcc
	s_cbranch_execz .LBB5_50
; %bb.47:                               ;   in Loop: Header=BB5_22 Depth=1
	v_cmp_nge_f32_e32 vcc, s27, v20
	v_bfrev_b32_e32 v8, 1
	s_and_saveexec_b64 s[4:5], vcc
; %bb.48:                               ;   in Loop: Header=BB5_22 Depth=1
	v_cvt_i32_f32_e32 v8, v20
; %bb.49:                               ;   in Loop: Header=BB5_22 Depth=1
	s_or_b64 exec, exec, s[4:5]
.LBB5_50:                               ;   in Loop: Header=BB5_22 Depth=1
	s_or_b64 exec, exec, s[2:3]
	v_and_b32_e32 v9, 0xffff0000, v9
	v_mul_f32_e32 v9, v38, v9
	v_rndne_f32_e32 v9, v9
	v_cmp_nle_f32_e32 vcc, s26, v9
	s_and_saveexec_b64 s[2:3], vcc
	s_cbranch_execz .LBB5_54
; %bb.51:                               ;   in Loop: Header=BB5_22 Depth=1
	v_cmp_nge_f32_e32 vcc, s27, v9
	v_bfrev_b32_e32 v19, 1
	s_and_saveexec_b64 s[4:5], vcc
; %bb.52:                               ;   in Loop: Header=BB5_22 Depth=1
	v_cvt_i32_f32_e32 v19, v9
; %bb.53:                               ;   in Loop: Header=BB5_22 Depth=1
	s_or_b64 exec, exec, s[4:5]
.LBB5_54:                               ;   in Loop: Header=BB5_22 Depth=1
	s_or_b64 exec, exec, s[2:3]
	s_waitcnt vmcnt(0)
	v_lshlrev_b32_e32 v9, 16, v2
	v_mul_f32_e32 v9, v38, v9
	v_rndne_f32_e32 v21, v9
	v_cmp_nle_f32_e32 vcc, s26, v21
	v_bfrev_b32_e32 v20, -2
	v_bfrev_b32_e32 v9, -2
	s_and_saveexec_b64 s[2:3], vcc
	s_cbranch_execz .LBB5_58
; %bb.55:                               ;   in Loop: Header=BB5_22 Depth=1
	v_cmp_nge_f32_e32 vcc, s27, v21
	v_bfrev_b32_e32 v9, 1
	s_and_saveexec_b64 s[4:5], vcc
; %bb.56:                               ;   in Loop: Header=BB5_22 Depth=1
	v_cvt_i32_f32_e32 v9, v21
; %bb.57:                               ;   in Loop: Header=BB5_22 Depth=1
	s_or_b64 exec, exec, s[4:5]
.LBB5_58:                               ;   in Loop: Header=BB5_22 Depth=1
	s_or_b64 exec, exec, s[2:3]
	v_and_b32_e32 v2, 0xffff0000, v2
	v_mul_f32_e32 v2, v38, v2
	v_rndne_f32_e32 v2, v2
	v_cmp_nle_f32_e32 vcc, s26, v2
	s_and_saveexec_b64 s[2:3], vcc
	s_cbranch_execz .LBB5_62
; %bb.59:                               ;   in Loop: Header=BB5_22 Depth=1
	v_cmp_nge_f32_e32 vcc, s27, v2
	v_bfrev_b32_e32 v20, 1
	s_and_saveexec_b64 s[4:5], vcc
; %bb.60:                               ;   in Loop: Header=BB5_22 Depth=1
	v_cvt_i32_f32_e32 v20, v2
; %bb.61:                               ;   in Loop: Header=BB5_22 Depth=1
	s_or_b64 exec, exec, s[4:5]
.LBB5_62:                               ;   in Loop: Header=BB5_22 Depth=1
	s_or_b64 exec, exec, s[2:3]
	v_lshlrev_b32_e32 v2, 16, v3
	v_mul_f32_e32 v2, v38, v2
	v_rndne_f32_e32 v22, v2
	v_cmp_nle_f32_e32 vcc, s26, v22
	v_bfrev_b32_e32 v21, -2
	v_bfrev_b32_e32 v2, -2
	s_and_saveexec_b64 s[2:3], vcc
	s_cbranch_execz .LBB5_66
; %bb.63:                               ;   in Loop: Header=BB5_22 Depth=1
	v_cmp_nge_f32_e32 vcc, s27, v22
	v_bfrev_b32_e32 v2, 1
	s_and_saveexec_b64 s[4:5], vcc
; %bb.64:                               ;   in Loop: Header=BB5_22 Depth=1
	v_cvt_i32_f32_e32 v2, v22
; %bb.65:                               ;   in Loop: Header=BB5_22 Depth=1
	s_or_b64 exec, exec, s[4:5]
.LBB5_66:                               ;   in Loop: Header=BB5_22 Depth=1
	s_or_b64 exec, exec, s[2:3]
	v_and_b32_e32 v3, 0xffff0000, v3
	v_mul_f32_e32 v3, v38, v3
	v_rndne_f32_e32 v3, v3
	v_cmp_nle_f32_e32 vcc, s26, v3
	s_and_saveexec_b64 s[2:3], vcc
	s_cbranch_execz .LBB5_70
; %bb.67:                               ;   in Loop: Header=BB5_22 Depth=1
	v_cmp_nge_f32_e32 vcc, s27, v3
	v_bfrev_b32_e32 v21, 1
	s_and_saveexec_b64 s[4:5], vcc
; %bb.68:                               ;   in Loop: Header=BB5_22 Depth=1
	v_cvt_i32_f32_e32 v21, v3
; %bb.69:                               ;   in Loop: Header=BB5_22 Depth=1
	s_or_b64 exec, exec, s[4:5]
.LBB5_70:                               ;   in Loop: Header=BB5_22 Depth=1
	s_or_b64 exec, exec, s[2:3]
	;; [unrolled: 34-line block ×3, first 2 shown]
	v_lshlrev_b32_e32 v4, 16, v5
	v_mul_f32_e32 v4, v38, v4
	v_rndne_f32_e32 v24, v4
	v_cmp_nle_f32_e32 vcc, s26, v24
	v_bfrev_b32_e32 v4, -2
	v_bfrev_b32_e32 v23, -2
	s_and_saveexec_b64 s[2:3], vcc
	s_cbranch_execz .LBB5_82
; %bb.79:                               ;   in Loop: Header=BB5_22 Depth=1
	v_cmp_nge_f32_e32 vcc, s27, v24
	v_bfrev_b32_e32 v23, 1
	s_and_saveexec_b64 s[4:5], vcc
; %bb.80:                               ;   in Loop: Header=BB5_22 Depth=1
	v_cvt_i32_f32_e32 v23, v24
; %bb.81:                               ;   in Loop: Header=BB5_22 Depth=1
	s_or_b64 exec, exec, s[4:5]
.LBB5_82:                               ;   in Loop: Header=BB5_22 Depth=1
	s_or_b64 exec, exec, s[2:3]
	v_and_b32_e32 v5, 0xffff0000, v5
	v_mul_f32_e32 v5, v38, v5
	v_rndne_f32_e32 v5, v5
	v_cmp_nle_f32_e32 vcc, s26, v5
	s_and_saveexec_b64 s[2:3], vcc
	s_cbranch_execz .LBB5_21
; %bb.83:                               ;   in Loop: Header=BB5_22 Depth=1
	v_cmp_nge_f32_e32 vcc, s27, v5
	v_bfrev_b32_e32 v4, 1
	s_and_saveexec_b64 s[4:5], vcc
	s_cbranch_execz .LBB5_20
; %bb.84:                               ;   in Loop: Header=BB5_22 Depth=1
	v_cvt_i32_f32_e32 v4, v5
	s_branch .LBB5_20
.LBB5_85:
	s_or_b64 exec, exec, s[22:23]
	v_lshl_add_u32 v2, s39, 4, v0
	v_cmp_gt_i32_e32 vcc, s34, v2
	s_and_saveexec_b64 s[2:3], vcc
	s_cbranch_execz .LBB5_97
; %bb.86:
	v_cvt_f32_u32_e32 v1, s28
	v_add_u32_e32 v3, s28, v2
	v_mov_b32_e32 v4, s28
	s_sub_i32 s4, 0, s28
	v_rcp_iflag_f32_e32 v1, v1
	v_cmp_gt_i32_e32 vcc, s34, v3
	v_max_i32_e32 v5, s34, v3
	v_addc_co_u32_e64 v3, s[0:1], v2, v4, vcc
	v_mul_f32_e32 v1, 0x4f7ffffe, v1
	v_cvt_u32_f32_e32 v1, v1
	v_sub_u32_e32 v3, v5, v3
	s_cmp_eq_u32 s28, 1
	v_mul_lo_u32 v4, s4, v1
	v_mul_hi_u32 v4, v1, v4
	v_add_u32_e32 v1, v1, v4
	v_mul_hi_u32 v1, v3, v1
	v_mul_lo_u32 v4, v1, s28
	v_sub_u32_e32 v3, v3, v4
	v_add_u32_e32 v5, 1, v1
	v_cmp_le_u32_e64 s[0:1], s28, v3
	v_subrev_u32_e32 v4, s28, v3
	v_cndmask_b32_e64 v1, v1, v5, s[0:1]
	v_cndmask_b32_e64 v3, v3, v4, s[0:1]
	v_add_u32_e32 v4, 1, v1
	v_cmp_le_u32_e64 s[0:1], s28, v3
	v_cndmask_b32_e64 v1, v1, v4, s[0:1]
	v_addc_co_u32_e32 v1, vcc, 1, v1, vcc
	v_cmp_lt_u32_e32 vcc, 3, v1
	s_cselect_b64 s[0:1], -1, 0
	s_and_b64 s[6:7], vcc, s[0:1]
	s_mov_b64 s[4:5], -1
	s_and_saveexec_b64 s[0:1], s[6:7]
	s_cbranch_execz .LBB5_90
; %bb.87:
	v_and_b32_e32 v3, -4, v1
	v_mov_b32_e32 v39, v38
	s_mov_b32 s6, s29
	s_mov_b32 s7, s29
	;; [unrolled: 1-line block ×3, first 2 shown]
	s_mov_b64 s[4:5], 0
	v_mov_b32_e32 v8, s38
	v_mov_b32_e32 v9, s37
	;; [unrolled: 1-line block ×4, first 2 shown]
	s_mov_b32 s23, 0x4f000000
	s_mov_b32 s24, 0xcf000000
	v_mov_b32_e32 v10, 0xcf000000
	v_bfrev_b32_e32 v11, -2
	s_movk_i32 s25, 0xff80
	v_mov_b32_e32 v12, 0x7f
	v_mov_b32_e32 v6, v2
	;; [unrolled: 1-line block ×3, first 2 shown]
.LBB5_88:                               ; =>This Inner Loop Header: Depth=1
	v_ashrrev_i32_e32 v7, 31, v6
	v_lshlrev_b64 v[14:15], 1, v[6:7]
	v_add_co_u32_e32 v14, vcc, s35, v14
	v_addc_co_u32_e32 v15, vcc, v9, v15, vcc
	global_load_dwordx2 v[14:15], v[14:15], off
	v_add_co_u32_e32 v16, vcc, s36, v6
	v_add_u32_e32 v13, -4, v13
	v_addc_co_u32_e32 v17, vcc, v8, v7, vcc
	v_cmp_eq_u32_e32 vcc, 0, v13
	s_or_b64 s[4:5], vcc, s[4:5]
	v_add_u32_e32 v6, 4, v6
	s_waitcnt vmcnt(0)
	v_and_b32_e32 v19, 0xffff0000, v15
	v_lshlrev_b32_e32 v18, 16, v15
	v_pk_mul_f32 v[18:19], v[4:5], v[18:19]
	v_and_b32_e32 v15, 0xffff0000, v14
	v_lshlrev_b32_e32 v14, 16, v14
	v_rndne_f32_e32 v7, v18
	v_pk_mul_f32 v[14:15], v[38:39], v[14:15]
	v_rndne_f32_e32 v18, v19
	v_cmp_nge_f32_e32 vcc, s24, v7
	v_rndne_f32_e32 v14, v14
	v_cndmask_b32_e32 v19, v10, v7, vcc
	v_cmp_nge_f32_e32 vcc, s24, v18
	v_rndne_f32_e32 v15, v15
	v_cndmask_b32_e32 v20, v10, v18, vcc
	v_cmp_nge_f32_e32 vcc, s24, v14
	v_cvt_i32_f32_e32 v19, v19
	v_cndmask_b32_e32 v21, v10, v14, vcc
	v_cmp_nge_f32_e32 vcc, s24, v15
	v_cvt_i32_f32_e32 v20, v20
	v_cndmask_b32_e32 v22, v10, v15, vcc
	v_cvt_i32_f32_e32 v21, v21
	v_cvt_i32_f32_e32 v22, v22
	v_cmp_nle_f32_e32 vcc, s23, v7
	v_cndmask_b32_e32 v7, v11, v19, vcc
	v_cmp_nle_f32_e32 vcc, s23, v18
	v_cndmask_b32_e32 v18, v11, v20, vcc
	;; [unrolled: 2-line block ×4, first 2 shown]
	v_add_u32_e32 v15, s6, v15
	v_add_u32_e32 v18, s22, v18
	;; [unrolled: 1-line block ×4, first 2 shown]
	v_med3_i32 v18, v18, s25, v12
	v_med3_i32 v15, v15, s25, v12
	;; [unrolled: 1-line block ×4, first 2 shown]
	v_lshlrev_b16_e32 v15, 8, v15
	v_lshlrev_b16_e32 v18, 8, v18
	v_or_b32_sdwa v14, v14, v15 dst_sel:DWORD dst_unused:UNUSED_PAD src0_sel:BYTE_0 src1_sel:DWORD
	v_or_b32_sdwa v7, v7, v18 dst_sel:WORD_1 dst_unused:UNUSED_PAD src0_sel:BYTE_0 src1_sel:DWORD
	v_or_b32_sdwa v7, v14, v7 dst_sel:DWORD dst_unused:UNUSED_PAD src0_sel:WORD_0 src1_sel:DWORD
	global_store_dword v[16:17], v7, off
	s_andn2_b64 exec, exec, s[4:5]
	s_cbranch_execnz .LBB5_88
; %bb.89:
	s_or_b64 exec, exec, s[4:5]
	v_cmp_ne_u32_e32 vcc, v1, v3
	v_add_u32_e32 v2, v2, v3
	s_orn2_b64 s[4:5], vcc, exec
.LBB5_90:
	s_or_b64 exec, exec, s[0:1]
	s_and_b64 exec, exec, s[4:5]
	s_cbranch_execz .LBB5_97
; %bb.91:
	s_add_u32 s0, s12, s20
	s_addc_u32 s1, s13, s21
	v_ashrrev_i32_e32 v3, 31, v2
	s_add_u32 s0, s8, s0
	v_lshlrev_b64 v[4:5], 1, v[2:3]
	s_addc_u32 s1, s9, s1
	s_lshl_b32 s20, s28, 1
	v_add_co_u32_e32 v4, vcc, s0, v4
	s_add_u32 s0, s18, s14
	v_mov_b32_e32 v1, s1
	s_addc_u32 s1, s19, s15
	s_add_u32 s0, s10, s0
	v_addc_co_u32_e32 v5, vcc, v1, v5, vcc
	s_addc_u32 s1, s11, s1
	s_mov_b32 s4, 0
	v_mov_b32_e32 v6, s1
	v_add_co_u32_e32 v1, vcc, s0, v2
	v_addc_co_u32_e32 v3, vcc, v6, v3, vcc
	s_mov_b64 s[0:1], 0
	s_mov_b32 s21, 0x4f000000
	s_mov_b32 s22, 0xcf000000
	s_movk_i32 s23, 0xff80
	v_mov_b32_e32 v6, 0x7f
	v_mov_b32_e32 v7, s4
	s_mov_b64 s[4:5], 0
	s_branch .LBB5_94
.LBB5_92:                               ;   in Loop: Header=BB5_94 Depth=1
	s_or_b64 exec, exec, s[18:19]
.LBB5_93:                               ;   in Loop: Header=BB5_94 Depth=1
	s_or_b64 exec, exec, s[6:7]
	v_mov_b32_e32 v9, s5
	v_add_co_u32_e32 v10, vcc, s4, v1
	v_add_u32_e32 v8, s29, v8
	v_addc_co_u32_e32 v11, vcc, v3, v9, vcc
	v_med3_i32 v8, v8, s23, v6
	s_add_u32 s4, s4, s28
	global_store_byte v[10:11], v8, off
	v_add_u32_e32 v8, s4, v2
	s_addc_u32 s5, s5, 0
	v_cmp_le_i32_e32 vcc, s34, v8
	s_or_b64 s[0:1], vcc, s[0:1]
	v_add_co_u32_e32 v4, vcc, s20, v4
	v_addc_co_u32_e32 v5, vcc, v5, v7, vcc
	s_andn2_b64 exec, exec, s[0:1]
	s_cbranch_execz .LBB5_97
.LBB5_94:                               ; =>This Inner Loop Header: Depth=1
	global_load_ushort v8, v[4:5], off
	s_waitcnt vmcnt(0)
	v_lshlrev_b32_e32 v8, 16, v8
	v_mul_f32_e32 v8, v38, v8
	v_rndne_f32_e32 v9, v8
	v_cmp_nle_f32_e32 vcc, s21, v9
	v_bfrev_b32_e32 v8, -2
	s_and_saveexec_b64 s[6:7], vcc
	s_cbranch_execz .LBB5_93
; %bb.95:                               ;   in Loop: Header=BB5_94 Depth=1
	v_cmp_nge_f32_e32 vcc, s22, v9
	v_bfrev_b32_e32 v8, 1
	s_and_saveexec_b64 s[18:19], vcc
	s_cbranch_execz .LBB5_92
; %bb.96:                               ;   in Loop: Header=BB5_94 Depth=1
	v_cvt_i32_f32_e32 v8, v9
	s_branch .LBB5_92
.LBB5_97:
	s_or_b64 exec, exec, s[2:3]
	s_mov_b64 s[0:1], 0
.LBB5_98:
	s_and_b64 vcc, exec, s[0:1]
	s_cbranch_vccz .LBB5_171
; %bb.99:
	s_ashr_i32 s22, s33, 4
	v_cmp_gt_i32_e32 vcc, s22, v0
	s_and_saveexec_b64 s[0:1], vcc
	s_cbranch_execz .LBB5_171
; %bb.100:
	v_cvt_f32_u32_e32 v1, s28
	v_add_u32_e32 v2, s28, v0
	v_mov_b32_e32 v3, s28
	s_sub_i32 s2, 0, s28
	v_rcp_iflag_f32_e32 v1, v1
	v_cmp_gt_i32_e32 vcc, s22, v2
	v_max_i32_e32 v4, s22, v2
	v_addc_co_u32_e64 v2, s[0:1], v0, v3, vcc
	v_mul_f32_e32 v1, 0x4f7ffffe, v1
	v_cvt_u32_f32_e32 v1, v1
	v_sub_u32_e32 v2, v4, v2
	s_cmp_eq_u32 s28, 1
	v_mul_lo_u32 v3, s2, v1
	v_mul_hi_u32 v3, v1, v3
	v_add_u32_e32 v1, v1, v3
	v_mul_hi_u32 v1, v2, v1
	v_mul_lo_u32 v3, v1, s28
	v_sub_u32_e32 v2, v2, v3
	v_add_u32_e32 v4, 1, v1
	v_cmp_le_u32_e64 s[0:1], s28, v2
	v_subrev_u32_e32 v3, s28, v2
	v_cndmask_b32_e64 v1, v1, v4, s[0:1]
	v_cndmask_b32_e64 v2, v2, v3, s[0:1]
	v_add_u32_e32 v3, 1, v1
	v_cmp_le_u32_e64 s[0:1], s28, v2
	v_cndmask_b32_e64 v1, v1, v3, s[0:1]
	v_addc_co_u32_e32 v50, vcc, 1, v1, vcc
	v_cmp_lt_u32_e32 vcc, 3, v50
	s_cselect_b64 s[0:1], -1, 0
	s_and_b64 s[2:3], vcc, s[0:1]
	s_mov_b64 s[0:1], -1
	s_and_saveexec_b64 s[18:19], s[2:3]
	s_cbranch_execz .LBB5_104
; %bb.101:
	v_add_u32_e32 v3, 3, v0
	v_add_u32_e32 v2, 2, v0
	v_and_b32_e32 v51, -4, v50
	v_add_u32_e32 v1, 1, v0
	v_pk_mov_b32 v[4:5], v[2:3], v[2:3] op_sel:[0,1]
	v_mov_b32_e32 v39, v38
	s_mov_b32 s23, s29
	s_mov_b32 s24, s29
	;; [unrolled: 1-line block ×3, first 2 shown]
	s_mov_b64 s[20:21], 0
	v_mov_b32_e32 v52, s31
	v_mov_b32_e32 v40, v38
	;; [unrolled: 1-line block ×3, first 2 shown]
	s_mov_b32 s26, 0x4f000000
	s_mov_b32 s27, 0xcf000000
	v_mov_b32_e32 v53, 0xcf000000
	v_bfrev_b32_e32 v54, -2
	s_movk_i32 s31, 0xff80
	v_mov_b32_e32 v55, 0x7f
	v_mov_b32_e32 v56, s17
	;; [unrolled: 1-line block ×4, first 2 shown]
	v_pk_mov_b32 v[2:3], v[0:1], v[0:1] op_sel:[0,1]
.LBB5_102:                              ; =>This Inner Loop Header: Depth=1
	v_mov_b32_e32 v42, v2
	v_lshlrev_b64 v[6:7], 5, v[42:43]
	v_add_co_u32_e32 v18, vcc, s30, v6
	v_mov_b32_e32 v44, v3
	v_mov_b32_e32 v45, v43
	v_addc_co_u32_e32 v19, vcc, v52, v7, vcc
	v_lshlrev_b64 v[6:7], 5, v[44:45]
	v_add_co_u32_e32 v20, vcc, s30, v6
	v_mov_b32_e32 v46, v4
	v_mov_b32_e32 v47, v43
	v_addc_co_u32_e32 v21, vcc, v52, v7, vcc
	;; [unrolled: 5-line block ×3, first 2 shown]
	v_lshlrev_b64 v[6:7], 5, v[48:49]
	v_add_co_u32_e32 v60, vcc, s30, v6
	v_addc_co_u32_e32 v61, vcc, v52, v7, vcc
	global_load_dwordx4 v[22:25], v[18:19], off
	global_load_dwordx4 v[26:29], v[20:21], off
	;; [unrolled: 1-line block ×4, first 2 shown]
	global_load_dwordx4 v[6:9], v[18:19], off offset:16
	global_load_dwordx4 v[10:13], v[20:21], off offset:16
	;; [unrolled: 1-line block ×3, first 2 shown]
                                        ; kill: killed $vgpr18 killed $vgpr19
                                        ; kill: killed $vgpr58 killed $vgpr59
                                        ; kill: killed $vgpr20 killed $vgpr21
	s_nop 0
	global_load_dwordx4 v[18:21], v[60:61], off offset:16
	v_lshlrev_b64 v[44:45], 4, v[44:45]
	v_lshlrev_b64 v[46:47], 4, v[46:47]
	v_lshlrev_b64 v[48:49], 4, v[48:49]
	v_add_u32_e32 v57, -4, v57
	v_add_u32_e32 v5, 4, v5
	v_add_u32_e32 v4, 4, v4
	;; [unrolled: 1-line block ×4, first 2 shown]
	s_waitcnt vmcnt(7)
	v_lshlrev_b32_e32 v60, 16, v22
	s_waitcnt vmcnt(6)
	v_lshlrev_b32_e32 v61, 16, v26
	;; [unrolled: 2-line block ×4, first 2 shown]
	v_pk_mul_f32 v[58:59], v[40:41], v[58:59]
	v_rndne_f32_e32 v1, v58
	v_pk_mul_f32 v[60:61], v[38:39], v[60:61]
	v_rndne_f32_e32 v58, v59
	v_cmp_nge_f32_e64 s[6:7], s27, v1
	v_rndne_f32_e32 v59, v60
	v_cmp_nle_f32_e64 s[4:5], s26, v1
	v_cndmask_b32_e64 v1, v53, v1, s[6:7]
	v_cmp_nge_f32_e64 s[6:7], s27, v58
	v_rndne_f32_e32 v60, v61
	v_cmp_nle_f32_e64 s[2:3], s26, v58
	v_cndmask_b32_e64 v58, v53, v58, s[6:7]
	v_cmp_nge_f32_e64 s[6:7], s27, v59
	v_cmp_nle_f32_e64 s[0:1], s26, v59
	v_cndmask_b32_e64 v59, v53, v59, s[6:7]
	v_cmp_nge_f32_e64 s[6:7], s27, v60
	v_cmp_nle_f32_e32 vcc, s26, v60
	v_cndmask_b32_e64 v60, v53, v60, s[6:7]
	v_cvt_i32_f32_e32 v60, v60
	v_cvt_i32_f32_e32 v59, v59
	v_cvt_i32_f32_e32 v58, v58
	v_cvt_i32_f32_e32 v1, v1
	v_cndmask_b32_e32 v60, v54, v60, vcc
	v_cndmask_b32_e64 v59, v54, v59, s[0:1]
	v_cndmask_b32_e64 v58, v54, v58, s[2:3]
	v_add_u32_e32 v60, s23, v60
	v_add_u32_e32 v59, s29, v59
	;; [unrolled: 1-line block ×3, first 2 shown]
	v_med3_i32 v64, v58, s31, v55
	v_med3_i32 v58, v59, s31, v55
	;; [unrolled: 1-line block ×3, first 2 shown]
	v_and_b32_e32 v61, 0xffff0000, v34
	v_and_b32_e32 v60, 0xffff0000, v30
	;; [unrolled: 1-line block ×4, first 2 shown]
	v_pk_mul_f32 v[60:61], v[40:41], v[60:61]
	v_pk_mul_f32 v[62:63], v[38:39], v[62:63]
	v_rndne_f32_e32 v22, v60
	v_rndne_f32_e32 v26, v62
	v_cmp_nge_f32_e64 s[6:7], s27, v22
	v_cndmask_b32_e64 v1, v54, v1, s[4:5]
	v_rndne_f32_e32 v30, v63
	v_cmp_nle_f32_e64 s[4:5], s26, v22
	v_cndmask_b32_e64 v22, v53, v22, s[6:7]
	v_cmp_nge_f32_e64 s[6:7], s27, v26
	v_rndne_f32_e32 v34, v61
	v_cmp_nle_f32_e64 s[2:3], s26, v26
	v_cndmask_b32_e64 v26, v53, v26, s[6:7]
	v_cmp_nge_f32_e64 s[6:7], s27, v30
	v_cmp_nle_f32_e64 s[0:1], s26, v30
	v_cndmask_b32_e64 v30, v53, v30, s[6:7]
	v_cmp_nge_f32_e64 s[6:7], s27, v34
	v_cmp_nle_f32_e32 vcc, s26, v34
	v_cndmask_b32_e64 v34, v53, v34, s[6:7]
	v_cvt_i32_f32_e32 v30, v30
	v_cvt_i32_f32_e32 v34, v34
	;; [unrolled: 1-line block ×4, first 2 shown]
	v_cndmask_b32_e64 v30, v54, v30, s[0:1]
	v_lshlrev_b16_e32 v59, 8, v59
	v_cndmask_b32_e64 v26, v54, v26, s[2:3]
	v_cndmask_b32_e64 v22, v54, v22, s[4:5]
	v_cndmask_b32_e32 v34, v54, v34, vcc
	v_add_u32_e32 v30, s23, v30
	v_lshlrev_b32_e32 v61, 16, v35
	v_lshlrev_b32_e32 v60, 16, v31
	v_or_b32_sdwa v58, v58, v59 dst_sel:DWORD dst_unused:UNUSED_PAD src0_sel:BYTE_0 src1_sel:DWORD
	v_add_u32_e32 v34, s25, v34
	v_add_u32_e32 v59, s29, v26
	;; [unrolled: 1-line block ×3, first 2 shown]
	v_med3_i32 v30, v30, s31, v55
	v_pk_mul_f32 v[60:61], v[40:41], v[60:61]
	v_med3_i32 v26, v22, s31, v55
	v_med3_i32 v59, v59, s31, v55
	;; [unrolled: 1-line block ×3, first 2 shown]
	v_lshlrev_b16_e32 v30, 8, v30
	v_lshlrev_b32_e32 v63, 16, v27
	v_lshlrev_b32_e32 v62, 16, v23
	v_rndne_f32_e32 v34, v60
	v_or_b32_sdwa v30, v59, v30 dst_sel:DWORD dst_unused:UNUSED_PAD src0_sel:BYTE_0 src1_sel:DWORD
	v_pk_mul_f32 v[62:63], v[38:39], v[62:63]
	v_rndne_f32_e32 v59, v61
	v_cmp_nge_f32_e64 s[6:7], s27, v34
	v_rndne_f32_e32 v60, v62
	v_cmp_nle_f32_e64 s[4:5], s26, v34
	v_cndmask_b32_e64 v34, v53, v34, s[6:7]
	v_cmp_nge_f32_e64 s[6:7], s27, v59
	v_rndne_f32_e32 v61, v63
	v_cmp_nle_f32_e64 s[2:3], s26, v59
	v_cndmask_b32_e64 v59, v53, v59, s[6:7]
	v_cmp_nge_f32_e64 s[6:7], s27, v60
	v_cmp_nle_f32_e64 s[0:1], s26, v60
	v_cndmask_b32_e64 v60, v53, v60, s[6:7]
	v_cmp_nge_f32_e64 s[6:7], s27, v61
	v_cmp_nle_f32_e32 vcc, s26, v61
	v_cndmask_b32_e64 v61, v53, v61, s[6:7]
	v_cvt_i32_f32_e32 v61, v61
	v_cvt_i32_f32_e32 v60, v60
	;; [unrolled: 1-line block ×3, first 2 shown]
	v_lshlrev_b16_e32 v22, 8, v22
	v_cndmask_b32_e32 v61, v54, v61, vcc
	v_cndmask_b32_e64 v60, v54, v60, s[0:1]
	v_cndmask_b32_e64 v59, v54, v59, s[2:3]
	v_add_u32_e32 v61, s23, v61
	v_add_u32_e32 v60, s29, v60
	;; [unrolled: 1-line block ×3, first 2 shown]
	v_or_b32_sdwa v22, v64, v22 dst_sel:DWORD dst_unused:UNUSED_PAD src0_sel:BYTE_0 src1_sel:DWORD
	v_med3_i32 v64, v59, s31, v55
	v_med3_i32 v59, v60, s31, v55
	;; [unrolled: 1-line block ×3, first 2 shown]
	v_lshlrev_b16_e32 v60, 8, v60
	v_cvt_i32_f32_e32 v34, v34
	v_or_b32_sdwa v59, v59, v60 dst_sel:DWORD dst_unused:UNUSED_PAD src0_sel:BYTE_0 src1_sel:DWORD
	v_and_b32_e32 v61, 0xffff0000, v35
	v_and_b32_e32 v60, 0xffff0000, v31
	;; [unrolled: 1-line block ×4, first 2 shown]
	v_pk_mul_f32 v[60:61], v[40:41], v[60:61]
	v_pk_mul_f32 v[62:63], v[38:39], v[62:63]
	v_rndne_f32_e32 v23, v60
	v_rndne_f32_e32 v27, v62
	v_cmp_nge_f32_e64 s[6:7], s27, v23
	v_cndmask_b32_e64 v34, v54, v34, s[4:5]
	v_rndne_f32_e32 v31, v63
	v_cmp_nle_f32_e64 s[4:5], s26, v23
	v_cndmask_b32_e64 v23, v53, v23, s[6:7]
	v_cmp_nge_f32_e64 s[6:7], s27, v27
	v_cmp_nle_f32_e64 s[2:3], s26, v27
	v_cndmask_b32_e64 v27, v53, v27, s[6:7]
	v_cmp_nge_f32_e64 s[6:7], s27, v31
	v_cmp_nle_f32_e64 s[0:1], s26, v31
	v_cndmask_b32_e64 v31, v53, v31, s[6:7]
	v_cvt_i32_f32_e32 v31, v31
	v_rndne_f32_e32 v35, v61
	v_cvt_i32_f32_e32 v27, v27
	v_cmp_nge_f32_e64 s[6:7], s27, v35
	v_cmp_nle_f32_e32 vcc, s26, v35
	v_cndmask_b32_e64 v35, v53, v35, s[6:7]
	v_cvt_i32_f32_e32 v35, v35
	v_cvt_i32_f32_e32 v23, v23
	v_cndmask_b32_e64 v31, v54, v31, s[0:1]
	v_cndmask_b32_e64 v27, v54, v27, s[2:3]
	v_add_u32_e32 v31, s23, v31
	v_add_u32_e32 v60, s29, v27
	v_med3_i32 v31, v31, s31, v55
	v_med3_i32 v60, v60, s31, v55
	v_lshlrev_b16_e32 v31, 8, v31
	v_cndmask_b32_e64 v23, v54, v23, s[4:5]
	v_cndmask_b32_e32 v35, v54, v35, vcc
	v_or_b32_sdwa v31, v60, v31 dst_sel:DWORD dst_unused:UNUSED_PAD src0_sel:BYTE_0 src1_sel:DWORD
	v_lshlrev_b32_e32 v61, 16, v36
	v_lshlrev_b32_e32 v60, 16, v32
	v_add_u32_e32 v35, s25, v35
	v_add_u32_e32 v23, s24, v23
	v_pk_mul_f32 v[60:61], v[40:41], v[60:61]
	v_med3_i32 v27, v23, s31, v55
	v_med3_i32 v23, v35, s31, v55
	v_lshlrev_b32_e32 v63, 16, v28
	v_lshlrev_b32_e32 v62, 16, v24
	v_rndne_f32_e32 v35, v60
	v_pk_mul_f32 v[62:63], v[38:39], v[62:63]
	v_rndne_f32_e32 v60, v61
	v_cmp_nge_f32_e64 s[6:7], s27, v35
	v_rndne_f32_e32 v61, v62
	v_cmp_nle_f32_e64 s[4:5], s26, v35
	v_cndmask_b32_e64 v35, v53, v35, s[6:7]
	v_cmp_nge_f32_e64 s[6:7], s27, v60
	v_rndne_f32_e32 v62, v63
	v_cmp_nle_f32_e64 s[2:3], s26, v60
	v_cndmask_b32_e64 v60, v53, v60, s[6:7]
	v_cmp_nge_f32_e64 s[6:7], s27, v61
	v_cmp_nle_f32_e64 s[0:1], s26, v61
	v_cndmask_b32_e64 v61, v53, v61, s[6:7]
	v_cmp_nge_f32_e64 s[6:7], s27, v62
	v_cmp_nle_f32_e32 vcc, s26, v62
	v_cndmask_b32_e64 v62, v53, v62, s[6:7]
	v_cvt_i32_f32_e32 v62, v62
	v_cvt_i32_f32_e32 v61, v61
	;; [unrolled: 1-line block ×3, first 2 shown]
	v_lshlrev_b16_e32 v23, 8, v23
	v_cndmask_b32_e32 v62, v54, v62, vcc
	v_cndmask_b32_e64 v61, v54, v61, s[0:1]
	v_cndmask_b32_e64 v60, v54, v60, s[2:3]
	v_add_u32_e32 v62, s23, v62
	v_add_u32_e32 v61, s29, v61
	;; [unrolled: 1-line block ×3, first 2 shown]
	v_cvt_i32_f32_e32 v35, v35
	v_med3_i32 v66, v60, s31, v55
	v_med3_i32 v60, v61, s31, v55
	;; [unrolled: 1-line block ×3, first 2 shown]
	v_and_b32_e32 v63, 0xffff0000, v36
	v_and_b32_e32 v62, 0xffff0000, v32
	v_or_b32_sdwa v23, v64, v23 dst_sel:WORD_1 dst_unused:UNUSED_PAD src0_sel:BYTE_0 src1_sel:DWORD
	v_and_b32_e32 v65, 0xffff0000, v28
	v_and_b32_e32 v64, 0xffff0000, v24
	v_pk_mul_f32 v[62:63], v[40:41], v[62:63]
	v_pk_mul_f32 v[64:65], v[38:39], v[64:65]
	v_rndne_f32_e32 v24, v62
	v_rndne_f32_e32 v28, v64
	v_cmp_nge_f32_e64 s[6:7], s27, v24
	v_cndmask_b32_e64 v35, v54, v35, s[4:5]
	v_rndne_f32_e32 v32, v65
	v_cmp_nle_f32_e64 s[4:5], s26, v24
	v_cndmask_b32_e64 v24, v53, v24, s[6:7]
	v_cmp_nge_f32_e64 s[6:7], s27, v28
	v_rndne_f32_e32 v36, v63
	v_cmp_nle_f32_e64 s[2:3], s26, v28
	v_cndmask_b32_e64 v28, v53, v28, s[6:7]
	v_cmp_nge_f32_e64 s[6:7], s27, v32
	v_cmp_nle_f32_e64 s[0:1], s26, v32
	v_cndmask_b32_e64 v32, v53, v32, s[6:7]
	v_cmp_nge_f32_e64 s[6:7], s27, v36
	v_cmp_nle_f32_e32 vcc, s26, v36
	v_cndmask_b32_e64 v36, v53, v36, s[6:7]
	v_cvt_i32_f32_e32 v32, v32
	v_cvt_i32_f32_e32 v36, v36
	;; [unrolled: 1-line block ×4, first 2 shown]
	v_cndmask_b32_e64 v32, v54, v32, s[0:1]
	v_lshlrev_b16_e32 v61, 8, v61
	v_cndmask_b32_e64 v28, v54, v28, s[2:3]
	v_cndmask_b32_e64 v24, v54, v24, s[4:5]
	v_cndmask_b32_e32 v36, v54, v36, vcc
	v_add_u32_e32 v32, s23, v32
	v_lshlrev_b32_e32 v63, 16, v37
	v_lshlrev_b32_e32 v62, 16, v33
	v_or_b32_sdwa v60, v60, v61 dst_sel:DWORD dst_unused:UNUSED_PAD src0_sel:BYTE_0 src1_sel:DWORD
	v_add_u32_e32 v36, s25, v36
	v_add_u32_e32 v61, s29, v28
	;; [unrolled: 1-line block ×3, first 2 shown]
	v_med3_i32 v32, v32, s31, v55
	v_pk_mul_f32 v[62:63], v[40:41], v[62:63]
	v_med3_i32 v28, v24, s31, v55
	v_med3_i32 v61, v61, s31, v55
	;; [unrolled: 1-line block ×3, first 2 shown]
	v_lshlrev_b16_e32 v32, 8, v32
	v_lshlrev_b32_e32 v65, 16, v29
	v_lshlrev_b32_e32 v64, 16, v25
	v_rndne_f32_e32 v36, v62
	v_or_b32_sdwa v32, v61, v32 dst_sel:DWORD dst_unused:UNUSED_PAD src0_sel:BYTE_0 src1_sel:DWORD
	v_pk_mul_f32 v[64:65], v[38:39], v[64:65]
	v_rndne_f32_e32 v61, v63
	v_cmp_nge_f32_e64 s[6:7], s27, v36
	v_rndne_f32_e32 v62, v64
	v_cmp_nle_f32_e64 s[4:5], s26, v36
	v_cndmask_b32_e64 v36, v53, v36, s[6:7]
	v_cmp_nge_f32_e64 s[6:7], s27, v61
	v_rndne_f32_e32 v63, v65
	v_cmp_nle_f32_e64 s[2:3], s26, v61
	v_cndmask_b32_e64 v61, v53, v61, s[6:7]
	v_cmp_nge_f32_e64 s[6:7], s27, v62
	v_cmp_nle_f32_e64 s[0:1], s26, v62
	v_cndmask_b32_e64 v62, v53, v62, s[6:7]
	v_cmp_nge_f32_e64 s[6:7], s27, v63
	v_cmp_nle_f32_e32 vcc, s26, v63
	v_cndmask_b32_e64 v63, v53, v63, s[6:7]
	v_cvt_i32_f32_e32 v63, v63
	v_cvt_i32_f32_e32 v62, v62
	;; [unrolled: 1-line block ×3, first 2 shown]
	v_lshlrev_b16_e32 v24, 8, v24
	v_cndmask_b32_e32 v63, v54, v63, vcc
	v_cndmask_b32_e64 v62, v54, v62, s[0:1]
	v_cndmask_b32_e64 v61, v54, v61, s[2:3]
	v_add_u32_e32 v63, s23, v63
	v_add_u32_e32 v62, s29, v62
	;; [unrolled: 1-line block ×3, first 2 shown]
	v_or_b32_sdwa v24, v66, v24 dst_sel:DWORD dst_unused:UNUSED_PAD src0_sel:BYTE_0 src1_sel:DWORD
	v_med3_i32 v66, v61, s31, v55
	v_med3_i32 v61, v62, s31, v55
	;; [unrolled: 1-line block ×3, first 2 shown]
	v_lshlrev_b16_e32 v62, 8, v62
	v_cvt_i32_f32_e32 v36, v36
	v_or_b32_sdwa v61, v61, v62 dst_sel:DWORD dst_unused:UNUSED_PAD src0_sel:BYTE_0 src1_sel:DWORD
	v_and_b32_e32 v63, 0xffff0000, v37
	v_and_b32_e32 v62, 0xffff0000, v33
	;; [unrolled: 1-line block ×4, first 2 shown]
	v_pk_mul_f32 v[62:63], v[40:41], v[62:63]
	v_pk_mul_f32 v[64:65], v[38:39], v[64:65]
	v_rndne_f32_e32 v25, v62
	v_rndne_f32_e32 v29, v64
	v_cmp_nge_f32_e64 s[6:7], s27, v25
	v_cndmask_b32_e64 v36, v54, v36, s[4:5]
	v_rndne_f32_e32 v33, v65
	v_cmp_nle_f32_e64 s[4:5], s26, v25
	v_cndmask_b32_e64 v25, v53, v25, s[6:7]
	v_cmp_nge_f32_e64 s[6:7], s27, v29
	v_cmp_nle_f32_e64 s[2:3], s26, v29
	v_cndmask_b32_e64 v29, v53, v29, s[6:7]
	v_cmp_nge_f32_e64 s[6:7], s27, v33
	v_cmp_nle_f32_e64 s[0:1], s26, v33
	v_cndmask_b32_e64 v33, v53, v33, s[6:7]
	v_cvt_i32_f32_e32 v33, v33
	v_rndne_f32_e32 v37, v63
	v_cvt_i32_f32_e32 v29, v29
	v_cmp_nge_f32_e64 s[6:7], s27, v37
	v_cmp_nle_f32_e32 vcc, s26, v37
	v_cndmask_b32_e64 v37, v53, v37, s[6:7]
	v_cvt_i32_f32_e32 v37, v37
	v_cvt_i32_f32_e32 v25, v25
	v_cndmask_b32_e64 v33, v54, v33, s[0:1]
	v_cndmask_b32_e64 v29, v54, v29, s[2:3]
	v_add_u32_e32 v33, s23, v33
	v_add_u32_e32 v62, s29, v29
	v_med3_i32 v33, v33, s31, v55
	v_med3_i32 v62, v62, s31, v55
	v_lshlrev_b16_e32 v33, 8, v33
	v_cndmask_b32_e64 v25, v54, v25, s[4:5]
	v_cndmask_b32_e32 v37, v54, v37, vcc
	v_or_b32_sdwa v33, v62, v33 dst_sel:DWORD dst_unused:UNUSED_PAD src0_sel:BYTE_0 src1_sel:DWORD
	s_waitcnt vmcnt(0)
	v_lshlrev_b32_e32 v63, 16, v18
	v_lshlrev_b32_e32 v62, 16, v14
	v_add_u32_e32 v37, s25, v37
	v_add_u32_e32 v25, s24, v25
	v_pk_mul_f32 v[62:63], v[40:41], v[62:63]
	v_med3_i32 v29, v25, s31, v55
	v_med3_i32 v25, v37, s31, v55
	v_lshlrev_b32_e32 v65, 16, v10
	v_lshlrev_b32_e32 v64, 16, v6
	v_rndne_f32_e32 v37, v62
	v_pk_mul_f32 v[64:65], v[38:39], v[64:65]
	v_rndne_f32_e32 v62, v63
	v_cmp_nge_f32_e64 s[6:7], s27, v37
	v_rndne_f32_e32 v63, v64
	v_cmp_nle_f32_e64 s[4:5], s26, v37
	v_cndmask_b32_e64 v37, v53, v37, s[6:7]
	v_cmp_nge_f32_e64 s[6:7], s27, v62
	v_rndne_f32_e32 v64, v65
	v_cmp_nle_f32_e64 s[2:3], s26, v62
	v_cndmask_b32_e64 v62, v53, v62, s[6:7]
	v_cmp_nge_f32_e64 s[6:7], s27, v63
	v_cmp_nle_f32_e64 s[0:1], s26, v63
	v_cndmask_b32_e64 v63, v53, v63, s[6:7]
	v_cmp_nge_f32_e64 s[6:7], s27, v64
	v_cmp_nle_f32_e32 vcc, s26, v64
	v_cndmask_b32_e64 v64, v53, v64, s[6:7]
	v_cvt_i32_f32_e32 v64, v64
	v_cvt_i32_f32_e32 v63, v63
	;; [unrolled: 1-line block ×3, first 2 shown]
	v_lshlrev_b16_e32 v25, 8, v25
	v_cndmask_b32_e32 v64, v54, v64, vcc
	v_cndmask_b32_e64 v63, v54, v63, s[0:1]
	v_cndmask_b32_e64 v62, v54, v62, s[2:3]
	v_add_u32_e32 v64, s23, v64
	v_add_u32_e32 v63, s29, v63
	;; [unrolled: 1-line block ×3, first 2 shown]
	v_cvt_i32_f32_e32 v37, v37
	v_med3_i32 v68, v62, s31, v55
	v_med3_i32 v62, v63, s31, v55
	;; [unrolled: 1-line block ×3, first 2 shown]
	v_and_b32_e32 v65, 0xffff0000, v18
	v_and_b32_e32 v64, 0xffff0000, v14
	v_or_b32_sdwa v25, v66, v25 dst_sel:WORD_1 dst_unused:UNUSED_PAD src0_sel:BYTE_0 src1_sel:DWORD
	v_and_b32_e32 v67, 0xffff0000, v10
	v_and_b32_e32 v66, 0xffff0000, v6
	v_pk_mul_f32 v[64:65], v[40:41], v[64:65]
	v_pk_mul_f32 v[66:67], v[38:39], v[66:67]
	v_rndne_f32_e32 v6, v64
	v_rndne_f32_e32 v10, v66
	v_cmp_nge_f32_e64 s[6:7], s27, v6
	v_cndmask_b32_e64 v37, v54, v37, s[4:5]
	v_rndne_f32_e32 v14, v67
	v_cmp_nle_f32_e64 s[4:5], s26, v6
	v_cndmask_b32_e64 v6, v53, v6, s[6:7]
	v_cmp_nge_f32_e64 s[6:7], s27, v10
	v_rndne_f32_e32 v18, v65
	v_cmp_nle_f32_e64 s[2:3], s26, v10
	v_cndmask_b32_e64 v10, v53, v10, s[6:7]
	v_cmp_nge_f32_e64 s[6:7], s27, v14
	v_cmp_nle_f32_e64 s[0:1], s26, v14
	v_cndmask_b32_e64 v14, v53, v14, s[6:7]
	v_cmp_nge_f32_e64 s[6:7], s27, v18
	v_cmp_nle_f32_e32 vcc, s26, v18
	v_cndmask_b32_e64 v18, v53, v18, s[6:7]
	v_cvt_i32_f32_e32 v14, v14
	v_cvt_i32_f32_e32 v18, v18
	;; [unrolled: 1-line block ×4, first 2 shown]
	v_cndmask_b32_e64 v14, v54, v14, s[0:1]
	v_lshlrev_b16_e32 v63, 8, v63
	v_cndmask_b32_e64 v10, v54, v10, s[2:3]
	v_cndmask_b32_e64 v6, v54, v6, s[4:5]
	v_cndmask_b32_e32 v18, v54, v18, vcc
	v_add_u32_e32 v14, s23, v14
	v_lshlrev_b32_e32 v65, 16, v19
	v_lshlrev_b32_e32 v64, 16, v15
	v_or_b32_sdwa v62, v62, v63 dst_sel:DWORD dst_unused:UNUSED_PAD src0_sel:BYTE_0 src1_sel:DWORD
	v_add_u32_e32 v18, s25, v18
	v_add_u32_e32 v63, s29, v10
	;; [unrolled: 1-line block ×3, first 2 shown]
	v_med3_i32 v14, v14, s31, v55
	v_pk_mul_f32 v[64:65], v[40:41], v[64:65]
	v_med3_i32 v10, v6, s31, v55
	v_med3_i32 v63, v63, s31, v55
	;; [unrolled: 1-line block ×3, first 2 shown]
	v_lshlrev_b16_e32 v14, 8, v14
	v_lshlrev_b32_e32 v67, 16, v11
	v_lshlrev_b32_e32 v66, 16, v7
	v_rndne_f32_e32 v18, v64
	v_or_b32_sdwa v14, v63, v14 dst_sel:DWORD dst_unused:UNUSED_PAD src0_sel:BYTE_0 src1_sel:DWORD
	v_pk_mul_f32 v[66:67], v[38:39], v[66:67]
	v_rndne_f32_e32 v63, v65
	v_cmp_nge_f32_e64 s[6:7], s27, v18
	v_rndne_f32_e32 v64, v66
	v_cmp_nle_f32_e64 s[4:5], s26, v18
	v_cndmask_b32_e64 v18, v53, v18, s[6:7]
	v_cmp_nge_f32_e64 s[6:7], s27, v63
	v_rndne_f32_e32 v65, v67
	v_cmp_nle_f32_e64 s[2:3], s26, v63
	v_cndmask_b32_e64 v63, v53, v63, s[6:7]
	v_cmp_nge_f32_e64 s[6:7], s27, v64
	v_cmp_nle_f32_e64 s[0:1], s26, v64
	v_cndmask_b32_e64 v64, v53, v64, s[6:7]
	v_cmp_nge_f32_e64 s[6:7], s27, v65
	v_cmp_nle_f32_e32 vcc, s26, v65
	v_cndmask_b32_e64 v65, v53, v65, s[6:7]
	v_cvt_i32_f32_e32 v65, v65
	v_cvt_i32_f32_e32 v64, v64
	;; [unrolled: 1-line block ×3, first 2 shown]
	v_lshlrev_b16_e32 v6, 8, v6
	v_cndmask_b32_e32 v65, v54, v65, vcc
	v_cndmask_b32_e64 v64, v54, v64, s[0:1]
	v_cndmask_b32_e64 v63, v54, v63, s[2:3]
	v_add_u32_e32 v65, s23, v65
	v_add_u32_e32 v64, s29, v64
	;; [unrolled: 1-line block ×3, first 2 shown]
	v_or_b32_sdwa v6, v68, v6 dst_sel:DWORD dst_unused:UNUSED_PAD src0_sel:BYTE_0 src1_sel:DWORD
	v_med3_i32 v68, v63, s31, v55
	v_med3_i32 v63, v64, s31, v55
	;; [unrolled: 1-line block ×3, first 2 shown]
	v_lshlrev_b16_e32 v64, 8, v64
	v_cvt_i32_f32_e32 v18, v18
	v_or_b32_sdwa v63, v63, v64 dst_sel:DWORD dst_unused:UNUSED_PAD src0_sel:BYTE_0 src1_sel:DWORD
	v_and_b32_e32 v65, 0xffff0000, v19
	v_and_b32_e32 v64, 0xffff0000, v15
	;; [unrolled: 1-line block ×4, first 2 shown]
	v_pk_mul_f32 v[64:65], v[40:41], v[64:65]
	v_pk_mul_f32 v[66:67], v[38:39], v[66:67]
	v_rndne_f32_e32 v7, v64
	v_rndne_f32_e32 v11, v66
	v_cmp_nge_f32_e64 s[6:7], s27, v7
	v_cndmask_b32_e64 v18, v54, v18, s[4:5]
	v_rndne_f32_e32 v15, v67
	v_cmp_nle_f32_e64 s[4:5], s26, v7
	v_cndmask_b32_e64 v7, v53, v7, s[6:7]
	v_cmp_nge_f32_e64 s[6:7], s27, v11
	v_cmp_nle_f32_e64 s[2:3], s26, v11
	v_cndmask_b32_e64 v11, v53, v11, s[6:7]
	v_cmp_nge_f32_e64 s[6:7], s27, v15
	v_cmp_nle_f32_e64 s[0:1], s26, v15
	v_cndmask_b32_e64 v15, v53, v15, s[6:7]
	v_cvt_i32_f32_e32 v15, v15
	v_rndne_f32_e32 v19, v65
	v_cvt_i32_f32_e32 v11, v11
	v_cmp_nge_f32_e64 s[6:7], s27, v19
	v_cmp_nle_f32_e32 vcc, s26, v19
	v_cndmask_b32_e64 v19, v53, v19, s[6:7]
	v_cvt_i32_f32_e32 v19, v19
	v_cvt_i32_f32_e32 v7, v7
	v_cndmask_b32_e64 v15, v54, v15, s[0:1]
	v_cndmask_b32_e64 v11, v54, v11, s[2:3]
	v_add_u32_e32 v15, s23, v15
	v_add_u32_e32 v64, s29, v11
	v_med3_i32 v15, v15, s31, v55
	v_med3_i32 v64, v64, s31, v55
	v_lshlrev_b16_e32 v15, 8, v15
	v_cndmask_b32_e64 v7, v54, v7, s[4:5]
	v_cndmask_b32_e32 v19, v54, v19, vcc
	v_or_b32_sdwa v15, v64, v15 dst_sel:DWORD dst_unused:UNUSED_PAD src0_sel:BYTE_0 src1_sel:DWORD
	v_lshlrev_b32_e32 v65, 16, v20
	v_lshlrev_b32_e32 v64, 16, v16
	v_add_u32_e32 v19, s25, v19
	v_add_u32_e32 v7, s24, v7
	v_pk_mul_f32 v[64:65], v[40:41], v[64:65]
	v_med3_i32 v11, v7, s31, v55
	v_med3_i32 v7, v19, s31, v55
	v_lshlrev_b32_e32 v67, 16, v12
	v_lshlrev_b32_e32 v66, 16, v8
	v_rndne_f32_e32 v19, v64
	v_pk_mul_f32 v[66:67], v[38:39], v[66:67]
	v_rndne_f32_e32 v64, v65
	v_cmp_nge_f32_e64 s[6:7], s27, v19
	v_rndne_f32_e32 v65, v66
	v_cmp_nle_f32_e64 s[4:5], s26, v19
	v_cndmask_b32_e64 v19, v53, v19, s[6:7]
	v_cmp_nge_f32_e64 s[6:7], s27, v64
	v_rndne_f32_e32 v66, v67
	v_cmp_nle_f32_e64 s[2:3], s26, v64
	v_cndmask_b32_e64 v64, v53, v64, s[6:7]
	v_cmp_nge_f32_e64 s[6:7], s27, v65
	v_cmp_nle_f32_e64 s[0:1], s26, v65
	v_cndmask_b32_e64 v65, v53, v65, s[6:7]
	v_cmp_nge_f32_e64 s[6:7], s27, v66
	v_cmp_nle_f32_e32 vcc, s26, v66
	v_cndmask_b32_e64 v66, v53, v66, s[6:7]
	v_cvt_i32_f32_e32 v66, v66
	v_cvt_i32_f32_e32 v65, v65
	;; [unrolled: 1-line block ×3, first 2 shown]
	v_lshlrev_b16_e32 v7, 8, v7
	v_cndmask_b32_e32 v66, v54, v66, vcc
	v_cndmask_b32_e64 v65, v54, v65, s[0:1]
	v_cndmask_b32_e64 v64, v54, v64, s[2:3]
	v_add_u32_e32 v66, s23, v66
	v_add_u32_e32 v65, s29, v65
	;; [unrolled: 1-line block ×3, first 2 shown]
	v_cvt_i32_f32_e32 v19, v19
	v_med3_i32 v70, v64, s31, v55
	v_med3_i32 v64, v65, s31, v55
	;; [unrolled: 1-line block ×3, first 2 shown]
	v_and_b32_e32 v67, 0xffff0000, v20
	v_and_b32_e32 v66, 0xffff0000, v16
	v_or_b32_sdwa v7, v68, v7 dst_sel:WORD_1 dst_unused:UNUSED_PAD src0_sel:BYTE_0 src1_sel:DWORD
	v_and_b32_e32 v69, 0xffff0000, v12
	v_and_b32_e32 v68, 0xffff0000, v8
	v_pk_mul_f32 v[66:67], v[40:41], v[66:67]
	v_pk_mul_f32 v[68:69], v[38:39], v[68:69]
	v_rndne_f32_e32 v8, v66
	v_rndne_f32_e32 v12, v68
	v_cmp_nge_f32_e64 s[6:7], s27, v8
	v_cndmask_b32_e64 v19, v54, v19, s[4:5]
	v_rndne_f32_e32 v16, v69
	v_cmp_nle_f32_e64 s[4:5], s26, v8
	v_cndmask_b32_e64 v8, v53, v8, s[6:7]
	v_cmp_nge_f32_e64 s[6:7], s27, v12
	v_rndne_f32_e32 v20, v67
	v_cmp_nle_f32_e64 s[2:3], s26, v12
	v_cndmask_b32_e64 v12, v53, v12, s[6:7]
	v_cmp_nge_f32_e64 s[6:7], s27, v16
	v_cmp_nle_f32_e64 s[0:1], s26, v16
	v_cndmask_b32_e64 v16, v53, v16, s[6:7]
	v_cmp_nge_f32_e64 s[6:7], s27, v20
	v_cmp_nle_f32_e32 vcc, s26, v20
	v_cndmask_b32_e64 v20, v53, v20, s[6:7]
	v_cvt_i32_f32_e32 v16, v16
	v_cvt_i32_f32_e32 v20, v20
	;; [unrolled: 1-line block ×4, first 2 shown]
	v_cndmask_b32_e64 v16, v54, v16, s[0:1]
	v_lshlrev_b16_e32 v65, 8, v65
	v_cndmask_b32_e64 v12, v54, v12, s[2:3]
	v_cndmask_b32_e64 v8, v54, v8, s[4:5]
	v_cndmask_b32_e32 v20, v54, v20, vcc
	v_add_u32_e32 v16, s23, v16
	v_lshlrev_b32_e32 v67, 16, v21
	v_lshlrev_b32_e32 v66, 16, v17
	v_or_b32_sdwa v64, v64, v65 dst_sel:DWORD dst_unused:UNUSED_PAD src0_sel:BYTE_0 src1_sel:DWORD
	v_add_u32_e32 v20, s25, v20
	v_add_u32_e32 v65, s29, v12
	v_add_u32_e32 v8, s24, v8
	v_med3_i32 v16, v16, s31, v55
	v_pk_mul_f32 v[66:67], v[40:41], v[66:67]
	v_med3_i32 v12, v8, s31, v55
	v_med3_i32 v65, v65, s31, v55
	;; [unrolled: 1-line block ×3, first 2 shown]
	v_lshlrev_b16_e32 v16, 8, v16
	v_lshlrev_b32_e32 v69, 16, v13
	v_lshlrev_b32_e32 v68, 16, v9
	v_rndne_f32_e32 v20, v66
	v_or_b32_sdwa v16, v65, v16 dst_sel:DWORD dst_unused:UNUSED_PAD src0_sel:BYTE_0 src1_sel:DWORD
	v_pk_mul_f32 v[68:69], v[38:39], v[68:69]
	v_rndne_f32_e32 v65, v67
	v_cmp_nge_f32_e64 s[6:7], s27, v20
	v_rndne_f32_e32 v66, v68
	v_cmp_nle_f32_e64 s[4:5], s26, v20
	v_cndmask_b32_e64 v20, v53, v20, s[6:7]
	v_cmp_nge_f32_e64 s[6:7], s27, v65
	v_rndne_f32_e32 v67, v69
	v_cmp_nle_f32_e64 s[2:3], s26, v65
	v_cndmask_b32_e64 v65, v53, v65, s[6:7]
	v_cmp_nge_f32_e64 s[6:7], s27, v66
	v_cmp_nle_f32_e64 s[0:1], s26, v66
	v_cndmask_b32_e64 v66, v53, v66, s[6:7]
	v_cmp_nge_f32_e64 s[6:7], s27, v67
	v_cmp_nle_f32_e32 vcc, s26, v67
	v_cndmask_b32_e64 v67, v53, v67, s[6:7]
	v_cvt_i32_f32_e32 v67, v67
	v_cvt_i32_f32_e32 v66, v66
	;; [unrolled: 1-line block ×3, first 2 shown]
	v_lshlrev_b16_e32 v8, 8, v8
	v_cndmask_b32_e32 v67, v54, v67, vcc
	v_cndmask_b32_e64 v66, v54, v66, s[0:1]
	v_cndmask_b32_e64 v65, v54, v65, s[2:3]
	v_add_u32_e32 v67, s23, v67
	v_add_u32_e32 v66, s29, v66
	v_add_u32_e32 v65, s25, v65
	v_or_b32_sdwa v8, v70, v8 dst_sel:DWORD dst_unused:UNUSED_PAD src0_sel:BYTE_0 src1_sel:DWORD
	v_med3_i32 v70, v65, s31, v55
	v_med3_i32 v65, v66, s31, v55
	;; [unrolled: 1-line block ×3, first 2 shown]
	v_lshlrev_b16_e32 v66, 8, v66
	v_cvt_i32_f32_e32 v20, v20
	v_or_b32_sdwa v65, v65, v66 dst_sel:DWORD dst_unused:UNUSED_PAD src0_sel:BYTE_0 src1_sel:DWORD
	v_and_b32_e32 v67, 0xffff0000, v21
	v_and_b32_e32 v66, 0xffff0000, v17
	;; [unrolled: 1-line block ×4, first 2 shown]
	v_pk_mul_f32 v[66:67], v[40:41], v[66:67]
	v_pk_mul_f32 v[68:69], v[38:39], v[68:69]
	v_rndne_f32_e32 v9, v66
	v_rndne_f32_e32 v13, v68
	v_cmp_nge_f32_e64 s[6:7], s27, v9
	v_cndmask_b32_e64 v20, v54, v20, s[4:5]
	v_rndne_f32_e32 v17, v69
	v_cmp_nle_f32_e64 s[4:5], s26, v9
	v_cndmask_b32_e64 v9, v53, v9, s[6:7]
	v_cmp_nge_f32_e64 s[6:7], s27, v13
	v_rndne_f32_e32 v21, v67
	v_cmp_nle_f32_e64 s[2:3], s26, v13
	v_cndmask_b32_e64 v13, v53, v13, s[6:7]
	v_cmp_nge_f32_e64 s[6:7], s27, v17
	v_cmp_nle_f32_e64 s[0:1], s26, v17
	v_cndmask_b32_e64 v17, v53, v17, s[6:7]
	v_cmp_nge_f32_e64 s[6:7], s27, v21
	v_cmp_nle_f32_e32 vcc, s26, v21
	v_cndmask_b32_e64 v21, v53, v21, s[6:7]
	v_cvt_i32_f32_e32 v21, v21
	v_cvt_i32_f32_e32 v17, v17
	;; [unrolled: 1-line block ×3, first 2 shown]
	v_lshlrev_b64 v[66:67], 4, v[42:43]
	v_cndmask_b32_e32 v21, v54, v21, vcc
	v_cndmask_b32_e64 v17, v54, v17, s[0:1]
	v_add_co_u32_e32 v66, vcc, s16, v66
	v_cndmask_b32_e64 v13, v54, v13, s[2:3]
	v_add_u32_e32 v17, s23, v17
	v_addc_co_u32_e32 v67, vcc, v56, v67, vcc
	v_add_u32_e32 v13, s29, v13
	v_med3_i32 v17, v17, s31, v55
	v_add_co_u32_e32 v44, vcc, s16, v44
	v_add_u32_e32 v1, s24, v1
	v_and_b32_e32 v58, 0xffff, v58
	v_med3_i32 v13, v13, s31, v55
	v_lshlrev_b16_e32 v17, 8, v17
	v_addc_co_u32_e32 v45, vcc, v56, v45, vcc
	v_med3_i32 v1, v1, s31, v55
	v_and_b32_e32 v30, 0xffff, v30
	v_or_b32_sdwa v13, v13, v17 dst_sel:DWORD dst_unused:UNUSED_PAD src0_sel:BYTE_0 src1_sel:DWORD
	v_add_co_u32_e32 v46, vcc, s16, v46
	v_lshrrev_b32_e32 v17, 8, v58
	v_and_b32_e32 v59, 0xffff, v59
	v_addc_co_u32_e32 v47, vcc, v56, v47, vcc
	global_store_byte v[66:67], v58, off
	global_store_byte v[44:45], v17, off
	;; [unrolled: 1-line block ×3, first 2 shown]
	global_store_byte v[66:67], v30, off offset:1
	v_lshrrev_b32_e32 v1, 8, v30
	v_add_u32_e32 v34, s24, v34
	v_and_b32_e32 v31, 0xffff, v31
	global_store_byte v[44:45], v1, off offset:1
	global_store_byte v[46:47], v26, off offset:1
	global_store_byte v[66:67], v59, off offset:2
	v_lshrrev_b32_e32 v1, 8, v59
	v_med3_i32 v34, v34, s31, v55
	v_and_b32_e32 v60, 0xffff, v60
	global_store_byte v[44:45], v1, off offset:2
	global_store_byte v[46:47], v34, off offset:2
	global_store_byte v[66:67], v31, off offset:3
	v_lshrrev_b32_e32 v1, 8, v31
	v_add_u32_e32 v35, s24, v35
	v_and_b32_e32 v32, 0xffff, v32
	global_store_byte v[44:45], v1, off offset:3
	global_store_byte v[46:47], v27, off offset:3
	global_store_byte v[66:67], v60, off offset:4
	v_lshrrev_b32_e32 v1, 8, v60
	v_med3_i32 v35, v35, s31, v55
	v_and_b32_e32 v61, 0xffff, v61
	global_store_byte v[44:45], v1, off offset:4
	global_store_byte v[46:47], v35, off offset:4
	;; [unrolled: 12-line block ×3, first 2 shown]
	global_store_byte v[66:67], v33, off offset:7
	v_lshrrev_b32_e32 v1, 8, v33
	v_add_u32_e32 v37, s24, v37
	v_and_b32_e32 v14, 0xffff, v14
	global_store_byte v[44:45], v1, off offset:7
	global_store_byte v[46:47], v29, off offset:7
	global_store_byte v[66:67], v62, off offset:8
	v_lshrrev_b32_e32 v1, 8, v62
	v_med3_i32 v37, v37, s31, v55
	v_and_b32_e32 v63, 0xffff, v63
	v_cvt_i32_f32_e32 v9, v9
	global_store_byte v[44:45], v1, off offset:8
	global_store_byte v[46:47], v37, off offset:8
	;; [unrolled: 1-line block ×3, first 2 shown]
	v_lshrrev_b32_e32 v1, 8, v14
	v_add_u32_e32 v18, s24, v18
	v_and_b32_e32 v15, 0xffff, v15
	global_store_byte v[44:45], v1, off offset:9
	global_store_byte v[46:47], v10, off offset:9
	;; [unrolled: 1-line block ×3, first 2 shown]
	v_lshrrev_b32_e32 v1, 8, v63
	v_med3_i32 v18, v18, s31, v55
	v_and_b32_e32 v64, 0xffff, v64
	global_store_byte v[44:45], v1, off offset:10
	global_store_byte v[46:47], v18, off offset:10
	;; [unrolled: 1-line block ×3, first 2 shown]
	v_lshrrev_b32_e32 v1, 8, v15
	v_add_u32_e32 v19, s24, v19
	v_and_b32_e32 v16, 0xffff, v16
	v_add_u32_e32 v21, s25, v21
	global_store_byte v[44:45], v1, off offset:11
	global_store_byte v[46:47], v11, off offset:11
	;; [unrolled: 1-line block ×3, first 2 shown]
	v_lshrrev_b32_e32 v1, 8, v64
	v_med3_i32 v19, v19, s31, v55
	v_and_b32_e32 v65, 0xffff, v65
	v_cndmask_b32_e64 v9, v54, v9, s[4:5]
	v_med3_i32 v21, v21, s31, v55
	v_add_co_u32_e32 v48, vcc, s16, v48
	global_store_byte v[44:45], v1, off offset:12
	global_store_byte v[46:47], v19, off offset:12
	;; [unrolled: 1-line block ×3, first 2 shown]
	v_lshrrev_b32_e32 v1, 8, v16
	v_add_u32_e32 v20, s24, v20
	v_add_u32_e32 v9, s24, v9
	v_lshlrev_b16_e32 v21, 8, v21
	v_and_b32_e32 v13, 0xffff, v13
	v_addc_co_u32_e32 v49, vcc, v56, v49, vcc
	global_store_byte v[44:45], v1, off offset:13
	global_store_byte v[46:47], v12, off offset:13
	;; [unrolled: 1-line block ×3, first 2 shown]
	v_lshrrev_b32_e32 v1, 8, v65
	v_med3_i32 v20, v20, s31, v55
	v_med3_i32 v9, v9, s31, v55
	v_or_b32_sdwa v21, v70, v21 dst_sel:WORD_1 dst_unused:UNUSED_PAD src0_sel:BYTE_0 src1_sel:DWORD
	global_store_byte v[44:45], v1, off offset:14
	global_store_byte v[46:47], v20, off offset:14
	;; [unrolled: 1-line block ×3, first 2 shown]
	v_lshrrev_b32_e32 v1, 8, v13
	v_cmp_eq_u32_e32 vcc, 0, v57
	global_store_byte v[44:45], v1, off offset:15
	global_store_byte v[46:47], v9, off offset:15
	v_or_b32_sdwa v9, v8, v21 dst_sel:DWORD dst_unused:UNUSED_PAD src0_sel:WORD_0 src1_sel:DWORD
	v_or_b32_sdwa v8, v6, v7 dst_sel:DWORD dst_unused:UNUSED_PAD src0_sel:WORD_0 src1_sel:DWORD
	;; [unrolled: 1-line block ×4, first 2 shown]
	s_or_b64 s[20:21], vcc, s[20:21]
	global_store_dwordx4 v[48:49], v[6:9], off
	s_andn2_b64 exec, exec, s[20:21]
	s_cbranch_execnz .LBB5_102
; %bb.103:
	s_or_b64 exec, exec, s[20:21]
	v_cmp_ne_u32_e32 vcc, v50, v51
	v_add_u32_e32 v0, v0, v51
	s_orn2_b64 s[0:1], vcc, exec
.LBB5_104:
	s_or_b64 exec, exec, s[18:19]
	s_and_b64 exec, exec, s[0:1]
	s_cbranch_execz .LBB5_171
; %bb.105:
	v_mov_b32_e32 v1, 0
	s_add_u32 s0, s10, s14
	v_lshlrev_b64 v[2:3], 4, v[0:1]
	s_addc_u32 s1, s11, s15
	s_lshl_b32 s7, s28, 4
	v_mov_b32_e32 v4, s1
	v_add_co_u32_e32 v10, vcc, s0, v2
	s_add_u32 s0, s8, s12
	v_addc_co_u32_e32 v11, vcc, v4, v3, vcc
	v_lshlrev_b64 v[2:3], 5, v[0:1]
	s_addc_u32 s1, s9, s13
	s_mov_b32 s6, 0
	v_mov_b32_e32 v1, s1
	v_add_co_u32_e32 v12, vcc, s0, v2
	v_addc_co_u32_e32 v13, vcc, v1, v3, vcc
	s_lshl_b32 s8, s28, 5
	s_mov_b32 s9, s6
	s_mov_b64 s[0:1], 0
	s_mov_b32 s10, 0x4f000000
	s_mov_b32 s11, 0xcf000000
	s_movk_i32 s12, 0xff80
	v_mov_b32_e32 v1, 0x7f
	s_branch .LBB5_108
.LBB5_106:                              ;   in Loop: Header=BB5_108 Depth=1
	s_or_b64 exec, exec, s[4:5]
.LBB5_107:                              ;   in Loop: Header=BB5_108 Depth=1
	s_or_b64 exec, exec, s[2:3]
	v_add_u32_e32 v21, s29, v21
	v_add_u32_e32 v4, s29, v4
	;; [unrolled: 1-line block ×3, first 2 shown]
	v_med3_i32 v21, v21, s12, v1
	v_add_u32_e32 v3, s29, v3
	v_med3_i32 v4, v4, s12, v1
	v_med3_i32 v5, v5, s12, v1
	;; [unrolled: 1-line block ×3, first 2 shown]
	v_add_u32_e32 v20, s29, v20
	v_add_u32_e32 v19, s29, v19
	v_lshlrev_b16_e32 v21, 8, v21
	v_lshlrev_b16_e32 v4, 8, v4
	v_med3_i32 v20, v20, s12, v1
	v_add_u32_e32 v2, s29, v2
	v_med3_i32 v19, v19, s12, v1
	v_add_u32_e32 v9, s29, v9
	v_or_b32_sdwa v3, v3, v21 dst_sel:DWORD dst_unused:UNUSED_PAD src0_sel:BYTE_0 src1_sel:DWORD
	v_or_b32_sdwa v4, v5, v4 dst_sel:WORD_1 dst_unused:UNUSED_PAD src0_sel:BYTE_0 src1_sel:DWORD
	v_med3_i32 v2, v2, s12, v1
	v_med3_i32 v9, v9, s12, v1
	v_add_u32_e32 v18, s29, v18
	v_add_u32_e32 v17, s29, v17
	v_or_b32_sdwa v5, v3, v4 dst_sel:DWORD dst_unused:UNUSED_PAD src0_sel:WORD_0 src1_sel:DWORD
	v_lshlrev_b16_e32 v3, 8, v19
	v_lshlrev_b16_e32 v4, 8, v20
	v_med3_i32 v18, v18, s12, v1
	v_add_u32_e32 v8, s29, v8
	v_med3_i32 v17, v17, s12, v1
	v_add_u32_e32 v7, s29, v7
	v_or_b32_sdwa v3, v9, v3 dst_sel:DWORD dst_unused:UNUSED_PAD src0_sel:BYTE_0 src1_sel:DWORD
	v_or_b32_sdwa v2, v2, v4 dst_sel:WORD_1 dst_unused:UNUSED_PAD src0_sel:BYTE_0 src1_sel:DWORD
	v_med3_i32 v8, v8, s12, v1
	v_med3_i32 v7, v7, s12, v1
	v_add_u32_e32 v16, s29, v16
	v_add_u32_e32 v14, s29, v14
	v_or_b32_sdwa v4, v3, v2 dst_sel:DWORD dst_unused:UNUSED_PAD src0_sel:WORD_0 src1_sel:DWORD
	v_lshlrev_b16_e32 v2, 8, v17
	v_lshlrev_b16_e32 v3, 8, v18
	v_med3_i32 v16, v16, s12, v1
	v_add_u32_e32 v6, s29, v6
	v_med3_i32 v14, v14, s12, v1
	v_add_u32_e32 v15, s29, v15
	v_or_b32_sdwa v2, v7, v2 dst_sel:DWORD dst_unused:UNUSED_PAD src0_sel:BYTE_0 src1_sel:DWORD
	v_or_b32_sdwa v3, v8, v3 dst_sel:WORD_1 dst_unused:UNUSED_PAD src0_sel:BYTE_0 src1_sel:DWORD
	v_med3_i32 v6, v6, s12, v1
	v_med3_i32 v15, v15, s12, v1
	v_or_b32_sdwa v3, v2, v3 dst_sel:DWORD dst_unused:UNUSED_PAD src0_sel:WORD_0 src1_sel:DWORD
	v_lshlrev_b16_e32 v2, 8, v14
	v_lshlrev_b16_e32 v7, 8, v16
	v_or_b32_sdwa v2, v15, v2 dst_sel:DWORD dst_unused:UNUSED_PAD src0_sel:BYTE_0 src1_sel:DWORD
	v_or_b32_sdwa v6, v6, v7 dst_sel:WORD_1 dst_unused:UNUSED_PAD src0_sel:BYTE_0 src1_sel:DWORD
	v_or_b32_sdwa v2, v2, v6 dst_sel:DWORD dst_unused:UNUSED_PAD src0_sel:WORD_0 src1_sel:DWORD
	global_store_dwordx4 v[10:11], v[2:5], off
	v_add_co_u32_e32 v10, vcc, s7, v10
	v_mov_b32_e32 v2, s6
	v_add_u32_e32 v0, s28, v0
	v_addc_co_u32_e32 v11, vcc, v11, v2, vcc
	v_cmp_le_i32_e32 vcc, s22, v0
	v_mov_b32_e32 v2, s9
	s_or_b64 s[0:1], vcc, s[0:1]
	v_add_co_u32_e32 v12, vcc, s8, v12
	v_addc_co_u32_e32 v13, vcc, v13, v2, vcc
	s_andn2_b64 exec, exec, s[0:1]
	s_cbranch_execz .LBB5_171
.LBB5_108:                              ; =>This Inner Loop Header: Depth=1
	global_load_dwordx4 v[6:9], v[12:13], off
	global_load_dwordx4 v[2:5], v[12:13], off offset:16
	v_bfrev_b32_e32 v14, -2
	s_waitcnt vmcnt(1)
	v_lshlrev_b32_e32 v15, 16, v6
	v_mul_f32_e32 v15, v38, v15
	v_rndne_f32_e32 v16, v15
	v_cmp_nle_f32_e32 vcc, s10, v16
	v_bfrev_b32_e32 v15, -2
	s_and_saveexec_b64 s[2:3], vcc
	s_cbranch_execz .LBB5_112
; %bb.109:                              ;   in Loop: Header=BB5_108 Depth=1
	v_cmp_nge_f32_e32 vcc, s11, v16
	v_bfrev_b32_e32 v15, 1
	s_and_saveexec_b64 s[4:5], vcc
; %bb.110:                              ;   in Loop: Header=BB5_108 Depth=1
	v_cvt_i32_f32_e32 v15, v16
; %bb.111:                              ;   in Loop: Header=BB5_108 Depth=1
	s_or_b64 exec, exec, s[4:5]
.LBB5_112:                              ;   in Loop: Header=BB5_108 Depth=1
	s_or_b64 exec, exec, s[2:3]
	v_and_b32_e32 v6, 0xffff0000, v6
	v_mul_f32_e32 v6, v38, v6
	v_rndne_f32_e32 v6, v6
	v_cmp_nle_f32_e32 vcc, s10, v6
	s_and_saveexec_b64 s[2:3], vcc
	s_cbranch_execz .LBB5_116
; %bb.113:                              ;   in Loop: Header=BB5_108 Depth=1
	v_cmp_nge_f32_e32 vcc, s11, v6
	v_bfrev_b32_e32 v14, 1
	s_and_saveexec_b64 s[4:5], vcc
; %bb.114:                              ;   in Loop: Header=BB5_108 Depth=1
	v_cvt_i32_f32_e32 v14, v6
; %bb.115:                              ;   in Loop: Header=BB5_108 Depth=1
	s_or_b64 exec, exec, s[4:5]
.LBB5_116:                              ;   in Loop: Header=BB5_108 Depth=1
	s_or_b64 exec, exec, s[2:3]
	v_lshlrev_b32_e32 v6, 16, v7
	v_mul_f32_e32 v6, v38, v6
	v_rndne_f32_e32 v17, v6
	v_cmp_nle_f32_e32 vcc, s10, v17
	v_bfrev_b32_e32 v16, -2
	v_bfrev_b32_e32 v6, -2
	s_and_saveexec_b64 s[2:3], vcc
	s_cbranch_execz .LBB5_120
; %bb.117:                              ;   in Loop: Header=BB5_108 Depth=1
	v_cmp_nge_f32_e32 vcc, s11, v17
	v_bfrev_b32_e32 v6, 1
	s_and_saveexec_b64 s[4:5], vcc
; %bb.118:                              ;   in Loop: Header=BB5_108 Depth=1
	v_cvt_i32_f32_e32 v6, v17
; %bb.119:                              ;   in Loop: Header=BB5_108 Depth=1
	s_or_b64 exec, exec, s[4:5]
.LBB5_120:                              ;   in Loop: Header=BB5_108 Depth=1
	s_or_b64 exec, exec, s[2:3]
	v_and_b32_e32 v7, 0xffff0000, v7
	v_mul_f32_e32 v7, v38, v7
	v_rndne_f32_e32 v7, v7
	v_cmp_nle_f32_e32 vcc, s10, v7
	s_and_saveexec_b64 s[2:3], vcc
	s_cbranch_execz .LBB5_124
; %bb.121:                              ;   in Loop: Header=BB5_108 Depth=1
	v_cmp_nge_f32_e32 vcc, s11, v7
	v_bfrev_b32_e32 v16, 1
	s_and_saveexec_b64 s[4:5], vcc
; %bb.122:                              ;   in Loop: Header=BB5_108 Depth=1
	v_cvt_i32_f32_e32 v16, v7
; %bb.123:                              ;   in Loop: Header=BB5_108 Depth=1
	s_or_b64 exec, exec, s[4:5]
.LBB5_124:                              ;   in Loop: Header=BB5_108 Depth=1
	s_or_b64 exec, exec, s[2:3]
	v_lshlrev_b32_e32 v7, 16, v8
	v_mul_f32_e32 v7, v38, v7
	v_rndne_f32_e32 v18, v7
	v_cmp_nle_f32_e32 vcc, s10, v18
	v_bfrev_b32_e32 v17, -2
	;; [unrolled: 34-line block ×3, first 2 shown]
	v_bfrev_b32_e32 v8, -2
	s_and_saveexec_b64 s[2:3], vcc
	s_cbranch_execz .LBB5_136
; %bb.133:                              ;   in Loop: Header=BB5_108 Depth=1
	v_cmp_nge_f32_e32 vcc, s11, v19
	v_bfrev_b32_e32 v8, 1
	s_and_saveexec_b64 s[4:5], vcc
; %bb.134:                              ;   in Loop: Header=BB5_108 Depth=1
	v_cvt_i32_f32_e32 v8, v19
; %bb.135:                              ;   in Loop: Header=BB5_108 Depth=1
	s_or_b64 exec, exec, s[4:5]
.LBB5_136:                              ;   in Loop: Header=BB5_108 Depth=1
	s_or_b64 exec, exec, s[2:3]
	v_and_b32_e32 v9, 0xffff0000, v9
	v_mul_f32_e32 v9, v38, v9
	v_rndne_f32_e32 v9, v9
	v_cmp_nle_f32_e32 vcc, s10, v9
	s_and_saveexec_b64 s[2:3], vcc
	s_cbranch_execz .LBB5_140
; %bb.137:                              ;   in Loop: Header=BB5_108 Depth=1
	v_cmp_nge_f32_e32 vcc, s11, v9
	v_bfrev_b32_e32 v18, 1
	s_and_saveexec_b64 s[4:5], vcc
; %bb.138:                              ;   in Loop: Header=BB5_108 Depth=1
	v_cvt_i32_f32_e32 v18, v9
; %bb.139:                              ;   in Loop: Header=BB5_108 Depth=1
	s_or_b64 exec, exec, s[4:5]
.LBB5_140:                              ;   in Loop: Header=BB5_108 Depth=1
	s_or_b64 exec, exec, s[2:3]
	s_waitcnt vmcnt(0)
	v_lshlrev_b32_e32 v9, 16, v2
	v_mul_f32_e32 v9, v38, v9
	v_rndne_f32_e32 v20, v9
	v_cmp_nle_f32_e32 vcc, s10, v20
	v_bfrev_b32_e32 v19, -2
	v_bfrev_b32_e32 v9, -2
	s_and_saveexec_b64 s[2:3], vcc
	s_cbranch_execz .LBB5_144
; %bb.141:                              ;   in Loop: Header=BB5_108 Depth=1
	v_cmp_nge_f32_e32 vcc, s11, v20
	v_bfrev_b32_e32 v9, 1
	s_and_saveexec_b64 s[4:5], vcc
; %bb.142:                              ;   in Loop: Header=BB5_108 Depth=1
	v_cvt_i32_f32_e32 v9, v20
; %bb.143:                              ;   in Loop: Header=BB5_108 Depth=1
	s_or_b64 exec, exec, s[4:5]
.LBB5_144:                              ;   in Loop: Header=BB5_108 Depth=1
	s_or_b64 exec, exec, s[2:3]
	v_and_b32_e32 v2, 0xffff0000, v2
	v_mul_f32_e32 v2, v38, v2
	v_rndne_f32_e32 v2, v2
	v_cmp_nle_f32_e32 vcc, s10, v2
	s_and_saveexec_b64 s[2:3], vcc
	s_cbranch_execz .LBB5_148
; %bb.145:                              ;   in Loop: Header=BB5_108 Depth=1
	v_cmp_nge_f32_e32 vcc, s11, v2
	v_bfrev_b32_e32 v19, 1
	s_and_saveexec_b64 s[4:5], vcc
; %bb.146:                              ;   in Loop: Header=BB5_108 Depth=1
	v_cvt_i32_f32_e32 v19, v2
; %bb.147:                              ;   in Loop: Header=BB5_108 Depth=1
	s_or_b64 exec, exec, s[4:5]
.LBB5_148:                              ;   in Loop: Header=BB5_108 Depth=1
	s_or_b64 exec, exec, s[2:3]
	v_lshlrev_b32_e32 v2, 16, v3
	v_mul_f32_e32 v2, v38, v2
	v_rndne_f32_e32 v21, v2
	v_cmp_nle_f32_e32 vcc, s10, v21
	v_bfrev_b32_e32 v20, -2
	v_bfrev_b32_e32 v2, -2
	s_and_saveexec_b64 s[2:3], vcc
	s_cbranch_execz .LBB5_152
; %bb.149:                              ;   in Loop: Header=BB5_108 Depth=1
	v_cmp_nge_f32_e32 vcc, s11, v21
	v_bfrev_b32_e32 v2, 1
	s_and_saveexec_b64 s[4:5], vcc
; %bb.150:                              ;   in Loop: Header=BB5_108 Depth=1
	v_cvt_i32_f32_e32 v2, v21
; %bb.151:                              ;   in Loop: Header=BB5_108 Depth=1
	s_or_b64 exec, exec, s[4:5]
.LBB5_152:                              ;   in Loop: Header=BB5_108 Depth=1
	s_or_b64 exec, exec, s[2:3]
	v_and_b32_e32 v3, 0xffff0000, v3
	v_mul_f32_e32 v3, v38, v3
	v_rndne_f32_e32 v3, v3
	v_cmp_nle_f32_e32 vcc, s10, v3
	s_and_saveexec_b64 s[2:3], vcc
	s_cbranch_execz .LBB5_156
; %bb.153:                              ;   in Loop: Header=BB5_108 Depth=1
	v_cmp_nge_f32_e32 vcc, s11, v3
	v_bfrev_b32_e32 v20, 1
	s_and_saveexec_b64 s[4:5], vcc
; %bb.154:                              ;   in Loop: Header=BB5_108 Depth=1
	v_cvt_i32_f32_e32 v20, v3
; %bb.155:                              ;   in Loop: Header=BB5_108 Depth=1
	s_or_b64 exec, exec, s[4:5]
.LBB5_156:                              ;   in Loop: Header=BB5_108 Depth=1
	s_or_b64 exec, exec, s[2:3]
	;; [unrolled: 34-line block ×3, first 2 shown]
	v_lshlrev_b32_e32 v4, 16, v5
	v_mul_f32_e32 v4, v38, v4
	v_rndne_f32_e32 v23, v4
	v_cmp_nle_f32_e32 vcc, s10, v23
	v_bfrev_b32_e32 v4, -2
	v_bfrev_b32_e32 v22, -2
	s_and_saveexec_b64 s[2:3], vcc
	s_cbranch_execz .LBB5_168
; %bb.165:                              ;   in Loop: Header=BB5_108 Depth=1
	v_cmp_nge_f32_e32 vcc, s11, v23
	v_bfrev_b32_e32 v22, 1
	s_and_saveexec_b64 s[4:5], vcc
; %bb.166:                              ;   in Loop: Header=BB5_108 Depth=1
	v_cvt_i32_f32_e32 v22, v23
; %bb.167:                              ;   in Loop: Header=BB5_108 Depth=1
	s_or_b64 exec, exec, s[4:5]
.LBB5_168:                              ;   in Loop: Header=BB5_108 Depth=1
	s_or_b64 exec, exec, s[2:3]
	v_and_b32_e32 v5, 0xffff0000, v5
	v_mul_f32_e32 v5, v38, v5
	v_rndne_f32_e32 v5, v5
	v_cmp_nle_f32_e32 vcc, s10, v5
	s_and_saveexec_b64 s[2:3], vcc
	s_cbranch_execz .LBB5_107
; %bb.169:                              ;   in Loop: Header=BB5_108 Depth=1
	v_cmp_nge_f32_e32 vcc, s11, v5
	v_bfrev_b32_e32 v4, 1
	s_and_saveexec_b64 s[4:5], vcc
	s_cbranch_execz .LBB5_106
; %bb.170:                              ;   in Loop: Header=BB5_108 Depth=1
	v_cvt_i32_f32_e32 v4, v5
	s_branch .LBB5_106
.LBB5_171:
	s_endpgm
	.section	.rodata,"a",@progbits
	.p2align	6, 0x0
	.amdhsa_kernel _ZN4vllm35static_scaled_int8_azp_quant_kernelIN3c108BFloat16EfiEEvPKT_PaPKT0_PKT1_i
		.amdhsa_group_segment_fixed_size 0
		.amdhsa_private_segment_fixed_size 0
		.amdhsa_kernarg_size 296
		.amdhsa_user_sgpr_count 6
		.amdhsa_user_sgpr_private_segment_buffer 1
		.amdhsa_user_sgpr_dispatch_ptr 0
		.amdhsa_user_sgpr_queue_ptr 0
		.amdhsa_user_sgpr_kernarg_segment_ptr 1
		.amdhsa_user_sgpr_dispatch_id 0
		.amdhsa_user_sgpr_flat_scratch_init 0
		.amdhsa_user_sgpr_kernarg_preload_length 0
		.amdhsa_user_sgpr_kernarg_preload_offset 0
		.amdhsa_user_sgpr_private_segment_size 0
		.amdhsa_uses_dynamic_stack 0
		.amdhsa_system_sgpr_private_segment_wavefront_offset 0
		.amdhsa_system_sgpr_workgroup_id_x 1
		.amdhsa_system_sgpr_workgroup_id_y 0
		.amdhsa_system_sgpr_workgroup_id_z 0
		.amdhsa_system_sgpr_workgroup_info 0
		.amdhsa_system_vgpr_workitem_id 0
		.amdhsa_next_free_vgpr 71
		.amdhsa_next_free_sgpr 46
		.amdhsa_accum_offset 72
		.amdhsa_reserve_vcc 1
		.amdhsa_reserve_flat_scratch 0
		.amdhsa_float_round_mode_32 0
		.amdhsa_float_round_mode_16_64 0
		.amdhsa_float_denorm_mode_32 3
		.amdhsa_float_denorm_mode_16_64 3
		.amdhsa_dx10_clamp 1
		.amdhsa_ieee_mode 1
		.amdhsa_fp16_overflow 0
		.amdhsa_tg_split 0
		.amdhsa_exception_fp_ieee_invalid_op 0
		.amdhsa_exception_fp_denorm_src 0
		.amdhsa_exception_fp_ieee_div_zero 0
		.amdhsa_exception_fp_ieee_overflow 0
		.amdhsa_exception_fp_ieee_underflow 0
		.amdhsa_exception_fp_ieee_inexact 0
		.amdhsa_exception_int_div_zero 0
	.end_amdhsa_kernel
	.section	.text._ZN4vllm35static_scaled_int8_azp_quant_kernelIN3c108BFloat16EfiEEvPKT_PaPKT0_PKT1_i,"axG",@progbits,_ZN4vllm35static_scaled_int8_azp_quant_kernelIN3c108BFloat16EfiEEvPKT_PaPKT0_PKT1_i,comdat
.Lfunc_end5:
	.size	_ZN4vllm35static_scaled_int8_azp_quant_kernelIN3c108BFloat16EfiEEvPKT_PaPKT0_PKT1_i, .Lfunc_end5-_ZN4vllm35static_scaled_int8_azp_quant_kernelIN3c108BFloat16EfiEEvPKT_PaPKT0_PKT1_i
                                        ; -- End function
	.section	.AMDGPU.csdata,"",@progbits
; Kernel info:
; codeLenInByte = 15484
; NumSgprs: 50
; NumVgprs: 71
; NumAgprs: 0
; TotalNumVgprs: 71
; ScratchSize: 0
; MemoryBound: 0
; FloatMode: 240
; IeeeMode: 1
; LDSByteSize: 0 bytes/workgroup (compile time only)
; SGPRBlocks: 6
; VGPRBlocks: 8
; NumSGPRsForWavesPerEU: 50
; NumVGPRsForWavesPerEU: 71
; AccumOffset: 72
; Occupancy: 7
; WaveLimiterHint : 0
; COMPUTE_PGM_RSRC2:SCRATCH_EN: 0
; COMPUTE_PGM_RSRC2:USER_SGPR: 6
; COMPUTE_PGM_RSRC2:TRAP_HANDLER: 0
; COMPUTE_PGM_RSRC2:TGID_X_EN: 1
; COMPUTE_PGM_RSRC2:TGID_Y_EN: 0
; COMPUTE_PGM_RSRC2:TGID_Z_EN: 0
; COMPUTE_PGM_RSRC2:TIDIG_COMP_CNT: 0
; COMPUTE_PGM_RSRC3_GFX90A:ACCUM_OFFSET: 17
; COMPUTE_PGM_RSRC3_GFX90A:TG_SPLIT: 0
	.section	.text._ZN4vllm32dynamic_scaled_int8_quant_kernelIffEEvPKT_PaPT0_i,"axG",@progbits,_ZN4vllm32dynamic_scaled_int8_quant_kernelIffEEvPKT_PaPT0_i,comdat
	.protected	_ZN4vllm32dynamic_scaled_int8_quant_kernelIffEEvPKT_PaPT0_i ; -- Begin function _ZN4vllm32dynamic_scaled_int8_quant_kernelIffEEvPKT_PaPT0_i
	.globl	_ZN4vllm32dynamic_scaled_int8_quant_kernelIffEEvPKT_PaPT0_i
	.p2align	8
	.type	_ZN4vllm32dynamic_scaled_int8_quant_kernelIffEEvPKT_PaPT0_i,@function
_ZN4vllm32dynamic_scaled_int8_quant_kernelIffEEvPKT_PaPT0_i: ; @_ZN4vllm32dynamic_scaled_int8_quant_kernelIffEEvPKT_PaPT0_i
; %bb.0:
	s_load_dword s48, s[4:5], 0x18
	s_load_dword s0, s[4:5], 0x2c
	s_load_dwordx2 s[30:31], s[4:5], 0x0
	s_mov_b32 s15, 0
	s_waitcnt lgkmcnt(0)
	s_ashr_i32 s1, s48, 31
	s_and_b32 s33, s0, 0xffff
	s_mul_hi_u32 s0, s48, s6
	s_mul_i32 s1, s1, s6
	s_add_i32 s37, s0, s1
	s_mul_i32 s36, s48, s6
	s_lshl_b64 s[34:35], s[36:37], 2
	s_add_u32 s49, s30, s34
	s_addc_u32 s50, s31, s35
	s_and_b32 s14, s49, 63
	s_cmp_lg_u64 s[14:15], 0
	s_cselect_b64 s[0:1], -1, 0
	s_and_b32 s2, s48, 15
	s_cmp_lg_u32 s2, 0
	s_cselect_b64 s[2:3], -1, 0
	s_or_b64 s[12:13], s[2:3], s[0:1]
	s_and_b64 vcc, exec, s[12:13]
	s_cbranch_vccz .LBB6_14
; %bb.1:
	s_sub_i32 s0, 0, s49
	s_bfe_u32 s0, s0, 0x40002
	s_min_i32 s0, s0, s48
	v_cmp_gt_i32_e32 vcc, s0, v0
	v_mov_b32_e32 v1, 0
	s_and_saveexec_b64 s[2:3], vcc
	s_cbranch_execz .LBB6_5
; %bb.2:
	s_add_u32 s1, s30, s34
	v_lshlrev_b32_e32 v1, 2, v0
	s_addc_u32 s8, s31, s35
	s_mov_b32 s7, 0
	v_mov_b32_e32 v3, s8
	v_add_co_u32_e32 v2, vcc, s1, v1
	v_addc_co_u32_e32 v3, vcc, 0, v3, vcc
	s_lshl_b32 s1, s33, 2
	s_mov_b64 s[8:9], 0
	v_mov_b32_e32 v1, 0
	v_mov_b32_e32 v4, s7
	;; [unrolled: 1-line block ×3, first 2 shown]
.LBB6_3:                                ; =>This Inner Loop Header: Depth=1
	global_load_dword v6, v[2:3], off
	v_add_co_u32_e32 v2, vcc, s1, v2
	v_add_u32_e32 v5, s33, v5
	v_addc_co_u32_e32 v3, vcc, v3, v4, vcc
	v_max_f32_e32 v1, v1, v1
	v_cmp_le_i32_e32 vcc, s0, v5
	s_or_b64 s[8:9], vcc, s[8:9]
	s_waitcnt vmcnt(0)
	v_max_f32_e64 v6, |v6|, |v6|
	v_max_f32_e32 v1, v1, v6
	s_andn2_b64 exec, exec, s[8:9]
	s_cbranch_execnz .LBB6_3
; %bb.4:
	s_or_b64 exec, exec, s[8:9]
.LBB6_5:
	s_or_b64 exec, exec, s[2:3]
	s_sub_i32 s7, s48, s0
	s_ashr_i32 s2, s7, 31
	s_lshr_b32 s2, s2, 28
	s_add_i32 s2, s7, s2
	s_ashr_i32 s10, s2, 4
	s_ashr_i32 s1, s0, 31
	v_cmp_gt_i32_e32 vcc, s10, v0
	s_and_saveexec_b64 s[2:3], vcc
	s_cbranch_execz .LBB6_9
; %bb.6:
	s_lshl_b64 s[8:9], s[0:1], 2
	s_add_u32 s8, s30, s8
	s_addc_u32 s9, s31, s9
	s_add_u32 s8, s8, s34
	v_lshlrev_b32_e32 v2, 6, v0
	s_addc_u32 s9, s9, s35
	s_mov_b32 s14, 0
	v_mov_b32_e32 v3, s9
	v_add_co_u32_e32 v2, vcc, s8, v2
	v_addc_co_u32_e32 v3, vcc, 0, v3, vcc
	s_lshl_b32 s11, s33, 6
	s_mov_b64 s[8:9], 0
	v_mov_b32_e32 v4, s14
	v_mov_b32_e32 v5, v0
.LBB6_7:                                ; =>This Inner Loop Header: Depth=1
	global_load_dwordx4 v[6:9], v[2:3], off
	global_load_dwordx4 v[10:13], v[2:3], off offset:16
	global_load_dwordx4 v[14:17], v[2:3], off offset:32
	;; [unrolled: 1-line block ×3, first 2 shown]
	v_add_co_u32_e32 v2, vcc, s11, v2
	v_add_u32_e32 v5, s33, v5
	v_addc_co_u32_e32 v3, vcc, v3, v4, vcc
	v_cmp_le_i32_e32 vcc, s10, v5
	s_or_b64 s[8:9], vcc, s[8:9]
	s_waitcnt vmcnt(3)
	v_max3_f32 v1, v1, |v6|, |v7|
	v_max3_f32 v1, v1, |v8|, |v9|
	s_waitcnt vmcnt(2)
	v_max3_f32 v1, v1, |v10|, |v11|
	v_max3_f32 v1, v1, |v12|, |v13|
	s_waitcnt vmcnt(1)
	v_max3_f32 v1, v1, |v14|, |v15|
	v_max3_f32 v1, v1, |v16|, |v17|
	s_waitcnt vmcnt(0)
	v_max3_f32 v1, v1, |v18|, |v19|
	v_max3_f32 v1, v1, |v20|, |v21|
	s_andn2_b64 exec, exec, s[8:9]
	s_cbranch_execnz .LBB6_7
; %bb.8:
	s_or_b64 exec, exec, s[8:9]
.LBB6_9:
	s_or_b64 exec, exec, s[2:3]
	v_lshl_add_u32 v2, s10, 4, v0
	v_cmp_gt_i32_e32 vcc, s7, v2
	s_and_saveexec_b64 s[2:3], vcc
	s_cbranch_execz .LBB6_13
; %bb.10:
	s_lshl_b64 s[0:1], s[0:1], 2
	s_add_u32 s0, s34, s0
	s_addc_u32 s1, s35, s1
	v_ashrrev_i32_e32 v3, 31, v2
	s_add_u32 s0, s30, s0
	v_lshlrev_b64 v[4:5], 2, v[2:3]
	s_addc_u32 s1, s31, s1
	v_mov_b32_e32 v3, s1
	v_add_co_u32_e32 v4, vcc, s0, v4
	s_mov_b32 s9, 0
	v_addc_co_u32_e32 v5, vcc, v3, v5, vcc
	s_lshl_b32 s8, s33, 2
	s_mov_b64 s[0:1], 0
	v_mov_b32_e32 v3, s9
.LBB6_11:                               ; =>This Inner Loop Header: Depth=1
	global_load_dword v6, v[4:5], off
	v_add_co_u32_e32 v4, vcc, s8, v4
	v_add_u32_e32 v2, s33, v2
	v_addc_co_u32_e32 v5, vcc, v5, v3, vcc
	v_max_f32_e32 v1, v1, v1
	v_cmp_le_i32_e32 vcc, s7, v2
	s_or_b64 s[0:1], vcc, s[0:1]
	s_waitcnt vmcnt(0)
	v_max_f32_e64 v6, |v6|, |v6|
	v_max_f32_e32 v1, v1, v6
	s_andn2_b64 exec, exec, s[0:1]
	s_cbranch_execnz .LBB6_11
; %bb.12:
	s_or_b64 exec, exec, s[0:1]
.LBB6_13:
	s_or_b64 exec, exec, s[2:3]
	s_branch .LBB6_20
.LBB6_14:
                                        ; implicit-def: $vgpr1
	s_cbranch_execz .LBB6_20
; %bb.15:
	s_ashr_i32 s7, s48, 4
	v_cmp_gt_i32_e32 vcc, s7, v0
	v_mov_b32_e32 v1, 0
	s_and_saveexec_b64 s[0:1], vcc
	s_cbranch_execz .LBB6_19
; %bb.16:
	s_add_u32 s2, s30, s34
	v_lshlrev_b32_e32 v1, 6, v0
	s_addc_u32 s3, s31, s35
	s_mov_b32 s9, 0
	v_mov_b32_e32 v3, s3
	v_add_co_u32_e32 v2, vcc, s2, v1
	v_addc_co_u32_e32 v3, vcc, 0, v3, vcc
	s_lshl_b32 s8, s33, 6
	s_mov_b64 s[2:3], 0
	v_mov_b32_e32 v1, 0
	v_mov_b32_e32 v4, s9
	;; [unrolled: 1-line block ×3, first 2 shown]
.LBB6_17:                               ; =>This Inner Loop Header: Depth=1
	global_load_dwordx4 v[6:9], v[2:3], off
	global_load_dwordx4 v[10:13], v[2:3], off offset:16
	global_load_dwordx4 v[14:17], v[2:3], off offset:32
	global_load_dwordx4 v[18:21], v[2:3], off offset:48
	v_add_co_u32_e32 v2, vcc, s8, v2
	v_add_u32_e32 v5, s33, v5
	v_addc_co_u32_e32 v3, vcc, v3, v4, vcc
	v_cmp_le_i32_e32 vcc, s7, v5
	s_or_b64 s[2:3], vcc, s[2:3]
	s_waitcnt vmcnt(3)
	v_max3_f32 v1, v1, |v6|, |v7|
	v_max3_f32 v1, v1, |v8|, |v9|
	s_waitcnt vmcnt(2)
	v_max3_f32 v1, v1, |v10|, |v11|
	v_max3_f32 v1, v1, |v12|, |v13|
	;; [unrolled: 3-line block ×4, first 2 shown]
	s_andn2_b64 exec, exec, s[2:3]
	s_cbranch_execnz .LBB6_17
; %bb.18:
	s_or_b64 exec, exec, s[2:3]
.LBB6_19:
	s_or_b64 exec, exec, s[0:1]
.LBB6_20:
	v_mbcnt_lo_u32_b32 v2, -1, 0
	v_mbcnt_hi_u32_b32 v2, -1, v2
	v_and_b32_e32 v3, 63, v2
	v_cmp_ne_u32_e32 vcc, 63, v3
	v_addc_co_u32_e32 v4, vcc, 0, v2, vcc
	v_lshlrev_b32_e32 v4, 2, v4
	ds_bpermute_b32 v4, v4, v1
	v_and_b32_e32 v5, 0x3c0, v0
	v_sub_u32_e64 v5, s33, v5 clamp
	v_add_u32_e32 v6, 1, v2
	v_cmp_gt_u32_e64 s[0:1], 62, v3
	s_waitcnt lgkmcnt(0)
	v_cmp_lt_f32_e32 vcc, v1, v4
	v_cndmask_b32_e32 v4, v1, v4, vcc
	v_cmp_lt_u32_e32 vcc, v6, v5
	v_cndmask_b32_e64 v6, 0, 1, s[0:1]
	v_lshlrev_b32_e32 v6, 1, v6
	v_cndmask_b32_e32 v4, v1, v4, vcc
	v_add_lshl_u32 v6, v6, v2, 2
	ds_bpermute_b32 v6, v6, v4
	v_add_u32_e32 v7, 2, v2
	v_cmp_gt_u32_e64 s[2:3], 60, v3
	v_cmp_gt_u32_e64 s[8:9], 56, v3
	;; [unrolled: 1-line block ×3, first 2 shown]
	s_waitcnt lgkmcnt(0)
	v_cmp_lt_f32_e64 s[0:1], v4, v6
	v_cndmask_b32_e64 v6, v4, v6, s[0:1]
	v_cmp_lt_u32_e64 s[0:1], v7, v5
	v_cndmask_b32_e64 v4, v4, v6, s[0:1]
	v_cndmask_b32_e64 v6, 0, 1, s[2:3]
	v_lshlrev_b32_e32 v6, 2, v6
	v_add_lshl_u32 v6, v6, v2, 2
	ds_bpermute_b32 v6, v6, v4
	v_add_u32_e32 v7, 4, v2
	s_or_b64 s[0:1], vcc, s[0:1]
	s_waitcnt lgkmcnt(0)
	v_cmp_lt_f32_e64 s[2:3], v4, v6
	v_cndmask_b32_e64 v6, v4, v6, s[2:3]
	v_cmp_lt_u32_e64 s[2:3], v7, v5
	v_cndmask_b32_e64 v4, v4, v6, s[2:3]
	v_cndmask_b32_e64 v6, 0, 1, s[8:9]
	v_lshlrev_b32_e32 v6, 3, v6
	v_add_lshl_u32 v6, v6, v2, 2
	ds_bpermute_b32 v6, v6, v4
	v_add_u32_e32 v7, 8, v2
	s_or_b64 s[2:3], s[2:3], s[0:1]
	v_cmp_gt_u32_e64 s[0:1], 32, v3
	v_cndmask_b32_e64 v3, 0, 1, s[0:1]
	s_waitcnt lgkmcnt(0)
	v_cmp_lt_f32_e64 s[8:9], v4, v6
	v_cndmask_b32_e64 v6, v4, v6, s[8:9]
	v_cmp_lt_u32_e64 s[8:9], v7, v5
	v_cndmask_b32_e64 v4, v4, v6, s[8:9]
	v_cndmask_b32_e64 v6, 0, 1, s[10:11]
	v_lshlrev_b32_e32 v6, 4, v6
	v_add_lshl_u32 v6, v6, v2, 2
	ds_bpermute_b32 v6, v6, v4
	v_add_u32_e32 v7, 16, v2
	v_lshlrev_b32_e32 v3, 5, v3
	v_add_lshl_u32 v3, v3, v2, 2
	s_or_b64 s[0:1], s[8:9], s[2:3]
	s_waitcnt lgkmcnt(0)
	v_cmp_lt_f32_e32 vcc, v4, v6
	v_cndmask_b32_e32 v6, v4, v6, vcc
	v_cmp_lt_u32_e32 vcc, v7, v5
	v_cndmask_b32_e32 v4, v4, v6, vcc
	ds_bpermute_b32 v3, v3, v4
	v_add_u32_e32 v6, 32, v2
	s_or_b64 s[2:3], vcc, s[0:1]
	v_cmp_lt_u32_e32 vcc, v6, v5
	s_waitcnt lgkmcnt(0)
	v_cmp_lt_f32_e64 s[0:1], v4, v3
	s_and_b64 s[0:1], vcc, s[0:1]
	v_cndmask_b32_e64 v3, v4, v3, s[0:1]
	s_or_b64 vcc, vcc, s[2:3]
	v_cndmask_b32_e32 v1, v1, v3, vcc
	v_cmp_eq_u32_e32 vcc, 0, v2
	s_and_saveexec_b64 s[0:1], vcc
	s_cbranch_execz .LBB6_22
; %bb.21:
	v_lshrrev_b32_e32 v3, 4, v0
	v_and_b32_e32 v3, 60, v3
	ds_write_b32 v3, v1
.LBB6_22:
	s_or_b64 exec, exec, s[0:1]
	v_cmp_gt_u32_e32 vcc, 4, v0
	s_waitcnt lgkmcnt(0)
	s_barrier
	s_and_saveexec_b64 s[8:9], vcc
	s_cbranch_execz .LBB6_24
; %bb.23:
	v_lshlrev_b32_e32 v1, 2, v2
	ds_read_b32 v1, v1
	v_and_b32_e32 v3, 3, v2
	v_cmp_ne_u32_e32 vcc, 3, v3
	v_addc_co_u32_e32 v4, vcc, 0, v2, vcc
	v_lshlrev_b32_e32 v4, 2, v4
	s_waitcnt lgkmcnt(0)
	ds_bpermute_b32 v4, v4, v1
	s_add_i32 s0, s33, 63
	s_lshr_b32 s2, s0, 6
	v_cmp_gt_u32_e64 s[0:1], 2, v3
	v_add_u32_e32 v5, 1, v3
	s_waitcnt lgkmcnt(0)
	v_cmp_lt_f32_e32 vcc, v1, v4
	v_cndmask_b32_e64 v6, 0, 1, s[0:1]
	v_cndmask_b32_e32 v4, v1, v4, vcc
	v_cmp_gt_u32_e32 vcc, s2, v5
	v_lshlrev_b32_e32 v6, 1, v6
	v_cndmask_b32_e32 v5, v1, v4, vcc
	v_add_lshl_u32 v2, v6, v2, 2
	ds_bpermute_b32 v2, v2, v5
	v_add_u32_e32 v3, 2, v3
	v_cmp_gt_u32_e64 s[0:1], s2, v3
	s_waitcnt lgkmcnt(0)
	v_cmp_lt_f32_e64 s[2:3], v4, v2
	s_and_b64 s[0:1], s[0:1], s[2:3]
	v_cndmask_b32_e64 v2, v4, v2, s[0:1]
	v_cndmask_b32_e32 v1, v1, v2, vcc
.LBB6_24:
	s_or_b64 exec, exec, s[8:9]
	s_load_dwordx2 s[38:39], s[4:5], 0x8
	v_cmp_eq_u32_e32 vcc, 0, v0
	s_and_saveexec_b64 s[0:1], vcc
	s_cbranch_execz .LBB6_26
; %bb.25:
	s_mov_b32 s8, 0x42fe0000
	v_div_scale_f32 v2, s[2:3], s8, s8, v1
	v_rcp_f32_e32 v3, v2
	s_load_dwordx2 s[2:3], s[4:5], 0x10
	s_mov_b32 s7, s15
	s_lshl_b64 s[4:5], s[6:7], 2
	v_fma_f32 v5, -v2, v3, 1.0
	v_fmac_f32_e32 v3, v5, v3
	v_div_scale_f32 v5, vcc, v1, s8, v1
	v_mul_f32_e32 v6, v5, v3
	v_fma_f32 v7, -v2, v6, v5
	v_fmac_f32_e32 v6, v7, v3
	v_fma_f32 v2, -v2, v6, v5
	v_mov_b32_e32 v4, 0
	v_div_fmas_f32 v2, v2, v3, v6
	s_waitcnt lgkmcnt(0)
	s_add_u32 s2, s2, s4
	ds_write_b32 v4, v1 offset:16
	v_div_fixup_f32 v1, v2, s8, v1
	s_addc_u32 s3, s3, s5
	global_store_dword v4, v1, s[2:3]
.LBB6_26:
	s_or_b64 exec, exec, s[0:1]
	v_mov_b32_e32 v1, 0
	s_waitcnt lgkmcnt(0)
	s_barrier
	ds_read_b32 v1, v1 offset:16
	s_mov_b32 s2, 0x42fe0000
	s_waitcnt lgkmcnt(0)
	v_div_scale_f32 v2, s[0:1], v1, v1, s2
	v_rcp_f32_e32 v3, v2
	v_div_scale_f32 v4, vcc, s2, v1, s2
	s_mov_b64 s[0:1], -1
	v_fma_f32 v5, -v2, v3, 1.0
	v_fmac_f32_e32 v3, v5, v3
	v_mul_f32_e32 v5, v4, v3
	v_fma_f32 v6, -v2, v5, v4
	v_fmac_f32_e32 v5, v6, v3
	v_fma_f32 v2, -v2, v5, v4
	v_div_fmas_f32 v2, v2, v3, v5
	v_div_fixup_f32 v2, v2, v1, s2
	v_cmp_neq_f32_e32 vcc, 0, v1
	v_cndmask_b32_e32 v18, 0, v2, vcc
	s_and_b64 vcc, exec, s[12:13]
	s_cbranch_vccz .LBB6_47
; %bb.27:
	s_add_u32 s42, s38, s36
	s_addc_u32 s43, s39, s37
	s_sub_i32 s0, 0, s49
	v_cvt_f32_u32_e32 v1, s33
	s_bfe_u32 s0, s0, 0x40002
	s_min_i32 s40, s0, s48
	v_cmp_gt_i32_e32 vcc, s40, v0
	s_and_saveexec_b64 s[2:3], vcc
	s_cbranch_execz .LBB6_35
; %bb.28:
	v_rcp_iflag_f32_e32 v2, v1
	v_add_u32_e32 v3, s33, v0
	v_mov_b32_e32 v4, s33
	v_cmp_gt_i32_e32 vcc, s40, v3
	v_mul_f32_e32 v2, 0x4f7ffffe, v2
	v_cvt_u32_f32_e32 v2, v2
	v_max_i32_e32 v5, s40, v3
	v_addc_co_u32_e64 v3, s[0:1], v0, v4, vcc
	s_sub_i32 s0, 0, s33
	v_mul_lo_u32 v4, s0, v2
	v_mul_hi_u32 v4, v2, v4
	v_sub_u32_e32 v3, v5, v3
	v_add_u32_e32 v2, v2, v4
	v_mul_hi_u32 v2, v3, v2
	v_mul_lo_u32 v4, v2, s33
	v_sub_u32_e32 v3, v3, v4
	v_add_u32_e32 v4, 1, v2
	v_cmp_le_u32_e64 s[0:1], s33, v3
	v_cndmask_b32_e64 v2, v2, v4, s[0:1]
	v_subrev_u32_e32 v4, s33, v3
	v_cndmask_b32_e64 v3, v3, v4, s[0:1]
	v_add_u32_e32 v4, 1, v2
	v_cmp_le_u32_e64 s[0:1], s33, v3
	v_cndmask_b32_e64 v2, v2, v4, s[0:1]
	v_addc_co_u32_e32 v4, vcc, 1, v2, vcc
	s_cmp_eq_u32 s33, 1
	v_cmp_lt_u32_e32 vcc, 1, v4
	s_cselect_b64 s[0:1], -1, 0
	s_and_b64 s[6:7], vcc, s[0:1]
	s_mov_b64 s[4:5], -1
	v_mov_b32_e32 v2, v0
	s_and_saveexec_b64 s[0:1], s[6:7]
	s_cbranch_execz .LBB6_32
; %bb.29:
	v_and_b32_e32 v5, -2, v4
	v_mov_b32_e32 v19, v18
	s_mov_b64 s[4:5], 0
	v_mov_b32_e32 v3, 0
	v_mov_b32_e32 v6, s50
	s_mov_b32 s6, 0x42fe0000
	v_mov_b32_e32 v7, 0x42fe0000
	s_mov_b32 s7, 0xc3000000
	v_mov_b32_e32 v8, 0xc3000000
	v_mov_b32_e32 v2, v0
	;; [unrolled: 1-line block ×3, first 2 shown]
.LBB6_30:                               ; =>This Inner Loop Header: Depth=1
	v_lshlrev_b64 v[10:11], 2, v[2:3]
	v_add_co_u32_e32 v10, vcc, s49, v10
	v_addc_co_u32_e32 v11, vcc, v6, v11, vcc
	global_load_dwordx2 v[10:11], v[10:11], off
	v_add_u32_e32 v9, -2, v9
	s_waitcnt vmcnt(0)
	v_pk_mul_f32 v[10:11], v[18:19], v[10:11]
	v_rndne_f32_e32 v11, v11
	v_rndne_f32_e32 v10, v10
	v_cmp_nlt_f32_e32 vcc, s6, v11
	v_cndmask_b32_e32 v12, v7, v11, vcc
	v_cmp_nlt_f32_e32 vcc, s6, v10
	v_cndmask_b32_e32 v13, v7, v10, vcc
	v_cmp_ngt_f32_e32 vcc, s7, v10
	v_cndmask_b32_e32 v10, v8, v13, vcc
	v_cmp_ngt_f32_e32 vcc, s7, v11
	v_cndmask_b32_e32 v11, v8, v12, vcc
	v_cvt_i32_f32_sdwa v11, v11 dst_sel:BYTE_1 dst_unused:UNUSED_PAD src0_sel:DWORD
	v_cvt_i32_f32_e32 v10, v10
	v_cmp_eq_u32_e32 vcc, 0, v9
	s_or_b64 s[4:5], vcc, s[4:5]
	v_or_b32_sdwa v10, v10, v11 dst_sel:DWORD dst_unused:UNUSED_PAD src0_sel:BYTE_0 src1_sel:DWORD
	global_store_short v2, v10, s[42:43]
	v_add_u32_e32 v2, 2, v2
	s_andn2_b64 exec, exec, s[4:5]
	s_cbranch_execnz .LBB6_30
; %bb.31:
	s_or_b64 exec, exec, s[4:5]
	v_cmp_ne_u32_e32 vcc, v4, v5
	v_add_u32_e32 v2, v0, v5
	s_orn2_b64 s[4:5], vcc, exec
.LBB6_32:
	s_or_b64 exec, exec, s[0:1]
	s_and_b64 exec, exec, s[4:5]
	s_cbranch_execz .LBB6_35
; %bb.33:
	v_mov_b32_e32 v3, 0
	s_add_u32 s1, s30, s34
	v_lshlrev_b64 v[4:5], 2, v[2:3]
	s_addc_u32 s4, s31, s35
	s_mov_b32 s0, 0
	v_mov_b32_e32 v6, s4
	v_add_co_u32_e32 v4, vcc, s1, v4
	v_addc_co_u32_e32 v5, vcc, v6, v5, vcc
	s_lshl_b32 s6, s33, 2
	s_mov_b64 s[4:5], 0
	v_mov_b32_e32 v6, s43
	s_mov_b32 s7, 0x42fe0000
	v_mov_b32_e32 v7, 0x42fe0000
	s_mov_b32 s8, 0xc3000000
	v_mov_b32_e32 v8, 0xc3000000
	v_mov_b32_e32 v9, s0
	;; [unrolled: 1-line block ×3, first 2 shown]
.LBB6_34:                               ; =>This Inner Loop Header: Depth=1
	global_load_dword v11, v[4:5], off
	v_add_co_u32_e32 v12, vcc, s42, v2
	v_addc_co_u32_e32 v13, vcc, v6, v3, vcc
	v_add_co_u32_e32 v2, vcc, s33, v2
	v_addc_co_u32_e32 v3, vcc, v3, v9, vcc
	;; [unrolled: 2-line block ×3, first 2 shown]
	v_cmp_le_i32_e32 vcc, s40, v2
	s_or_b64 s[4:5], vcc, s[4:5]
	s_waitcnt vmcnt(0)
	v_mul_f32_e32 v11, v18, v11
	v_rndne_f32_e32 v11, v11
	v_cmp_nlt_f32_e64 s[0:1], s7, v11
	v_cndmask_b32_e64 v14, v7, v11, s[0:1]
	v_cmp_ngt_f32_e64 s[0:1], s8, v11
	v_cndmask_b32_e64 v11, v8, v14, s[0:1]
	v_cvt_i32_f32_e32 v11, v11
	global_store_byte v[12:13], v11, off
	s_andn2_b64 exec, exec, s[4:5]
	s_cbranch_execnz .LBB6_34
.LBB6_35:
	s_or_b64 exec, exec, s[2:3]
	s_sub_i32 s51, s48, s40
	s_ashr_i32 s0, s51, 31
	s_lshr_b32 s0, s0, 28
	s_add_i32 s0, s51, s0
	s_ashr_i32 s52, s0, 4
	s_ashr_i32 s41, s40, 31
	v_cmp_gt_i32_e32 vcc, s52, v0
	s_and_saveexec_b64 s[44:45], vcc
	s_cbranch_execz .LBB6_38
; %bb.36:
	s_add_u32 s0, s40, s36
	s_addc_u32 s1, s41, s37
	s_add_u32 s0, s38, s0
	v_lshlrev_b32_e32 v2, 4, v0
	s_addc_u32 s1, s39, s1
	v_mov_b32_e32 v3, s1
	v_add_co_u32_e32 v20, vcc, s0, v2
	s_lshl_b32 s53, s33, 4
	s_lshl_b64 s[0:1], s[40:41], 2
	s_add_u32 s0, s30, s0
	s_addc_u32 s1, s31, s1
	s_add_u32 s0, s0, s34
	v_addc_co_u32_e32 v21, vcc, 0, v3, vcc
	v_lshlrev_b32_e32 v2, 6, v0
	s_addc_u32 s1, s1, s35
	s_mov_b32 s2, 0
	v_mov_b32_e32 v3, s1
	v_add_co_u32_e32 v22, vcc, s0, v2
	v_addc_co_u32_e32 v23, vcc, 0, v3, vcc
	s_lshl_b32 s54, s33, 6
	s_mov_b64 s[46:47], 0
	s_mov_b32 s55, 0x42fe0000
	v_mov_b32_e32 v19, 0x42fe0000
	s_mov_b32 s56, 0xc3000000
	v_mov_b32_e32 v24, 0xc3000000
	v_mov_b32_e32 v25, s2
	;; [unrolled: 1-line block ×4, first 2 shown]
.LBB6_37:                               ; =>This Inner Loop Header: Depth=1
	global_load_dwordx4 v[14:17], v[22:23], off
	global_load_dwordx4 v[10:13], v[22:23], off offset:16
	global_load_dwordx4 v[6:9], v[22:23], off offset:32
	;; [unrolled: 1-line block ×3, first 2 shown]
	v_add_co_u32_e32 v22, vcc, s54, v22
	v_add_u32_e32 v27, s33, v27
	v_addc_co_u32_e32 v23, vcc, v23, v26, vcc
	v_cmp_le_i32_e32 vcc, s52, v27
	s_or_b64 s[46:47], vcc, s[46:47]
	s_waitcnt vmcnt(3)
	v_mul_f32_e32 v14, v18, v14
	v_mul_f32_e32 v15, v18, v15
	v_mul_f32_e32 v16, v18, v16
	v_mul_f32_e32 v17, v18, v17
	s_waitcnt vmcnt(2)
	v_mul_f32_e32 v10, v18, v10
	v_mul_f32_e32 v11, v18, v11
	v_mul_f32_e32 v12, v18, v12
	v_mul_f32_e32 v13, v18, v13
	;; [unrolled: 5-line block ×4, first 2 shown]
	v_rndne_f32_e32 v14, v14
	v_rndne_f32_e32 v15, v15
	;; [unrolled: 1-line block ×16, first 2 shown]
	v_cmp_nlt_f32_e32 vcc, s55, v14
	v_cndmask_b32_e32 v28, v19, v14, vcc
	v_cmp_nlt_f32_e32 vcc, s55, v15
	v_cmp_nlt_f32_e64 s[0:1], s55, v16
	v_cmp_nlt_f32_e64 s[2:3], s55, v17
	;; [unrolled: 1-line block ×14, first 2 shown]
	v_cndmask_b32_e32 v29, v19, v15, vcc
	v_cmp_ngt_f32_e32 vcc, s56, v15
	v_cndmask_b32_e64 v15, v19, v16, s[0:1]
	v_cmp_ngt_f32_e64 s[0:1], s56, v16
	v_cndmask_b32_e64 v16, v19, v17, s[2:3]
	v_cmp_ngt_f32_e64 s[2:3], s56, v17
	;; [unrolled: 2-line block ×14, first 2 shown]
	v_cmp_ngt_f32_e64 s[28:29], s56, v14
	v_cndmask_b32_e64 v5, v24, v28, s[28:29]
	v_cndmask_b32_e32 v14, v24, v29, vcc
	v_cndmask_b32_e64 v15, v24, v15, s[0:1]
	v_cndmask_b32_e64 v16, v24, v16, s[2:3]
	;; [unrolled: 1-line block ×14, first 2 shown]
	v_cvt_i32_f32_e32 v5, v5
	v_cvt_i32_f32_sdwa v14, v14 dst_sel:BYTE_1 dst_unused:UNUSED_PAD src0_sel:DWORD
	v_cvt_i32_f32_e32 v15, v15
	v_cvt_i32_f32_sdwa v16, v16 dst_sel:BYTE_1 dst_unused:UNUSED_PAD src0_sel:DWORD
	;; [unrolled: 2-line block ×8, first 2 shown]
	v_or_b32_sdwa v2, v9, v2 dst_sel:DWORD dst_unused:UNUSED_PAD src0_sel:BYTE_0 src1_sel:DWORD
	v_or_b32_sdwa v3, v3, v4 dst_sel:WORD_1 dst_unused:UNUSED_PAD src0_sel:BYTE_0 src1_sel:DWORD
	v_or_b32_sdwa v4, v13, v6 dst_sel:DWORD dst_unused:UNUSED_PAD src0_sel:BYTE_0 src1_sel:DWORD
	v_or_b32_sdwa v6, v7, v8 dst_sel:WORD_1 dst_unused:UNUSED_PAD src0_sel:BYTE_0 src1_sel:DWORD
	;; [unrolled: 2-line block ×4, first 2 shown]
	v_or_b32_sdwa v5, v2, v3 dst_sel:DWORD dst_unused:UNUSED_PAD src0_sel:WORD_0 src1_sel:DWORD
	v_or_b32_sdwa v4, v4, v6 dst_sel:DWORD dst_unused:UNUSED_PAD src0_sel:WORD_0 src1_sel:DWORD
	;; [unrolled: 1-line block ×4, first 2 shown]
	global_store_dwordx4 v[20:21], v[2:5], off
	v_add_co_u32_e32 v20, vcc, s53, v20
	v_addc_co_u32_e32 v21, vcc, v21, v25, vcc
	s_andn2_b64 exec, exec, s[46:47]
	s_cbranch_execnz .LBB6_37
.LBB6_38:
	s_or_b64 exec, exec, s[44:45]
	v_lshl_add_u32 v2, s52, 4, v0
	v_cmp_gt_i32_e32 vcc, s51, v2
	s_and_saveexec_b64 s[2:3], vcc
	s_cbranch_execz .LBB6_46
; %bb.39:
	v_rcp_iflag_f32_e32 v1, v1
	v_add_u32_e32 v3, s33, v2
	v_mov_b32_e32 v5, s33
	v_cmp_gt_i32_e32 vcc, s51, v3
	v_mul_f32_e32 v1, 0x4f7ffffe, v1
	v_cvt_u32_f32_e32 v1, v1
	s_add_u32 s6, s42, s40
	v_max_i32_e32 v4, s51, v3
	v_addc_co_u32_e64 v3, s[0:1], v2, v5, vcc
	s_addc_u32 s7, s43, s41
	s_sub_i32 s0, 0, s33
	v_sub_u32_e32 v3, v4, v3
	v_mul_lo_u32 v4, s0, v1
	v_mul_hi_u32 v4, v1, v4
	v_add_u32_e32 v1, v1, v4
	v_mul_hi_u32 v1, v3, v1
	v_mul_lo_u32 v4, v1, s33
	v_sub_u32_e32 v3, v3, v4
	v_add_u32_e32 v4, 1, v1
	v_cmp_le_u32_e64 s[0:1], s33, v3
	v_cndmask_b32_e64 v1, v1, v4, s[0:1]
	v_subrev_u32_e32 v4, s33, v3
	v_cndmask_b32_e64 v3, v3, v4, s[0:1]
	v_add_u32_e32 v4, 1, v1
	v_cmp_le_u32_e64 s[0:1], s33, v3
	v_cndmask_b32_e64 v1, v1, v4, s[0:1]
	v_addc_co_u32_e32 v1, vcc, 1, v1, vcc
	s_cmp_eq_u32 s33, 1
	v_cmp_lt_u32_e32 vcc, 1, v1
	s_cselect_b64 s[0:1], -1, 0
	s_and_b64 s[8:9], vcc, s[0:1]
	s_mov_b64 s[4:5], -1
	s_and_saveexec_b64 s[0:1], s[8:9]
	s_cbranch_execz .LBB6_43
; %bb.40:
	s_lshl_b64 s[4:5], s[40:41], 2
	s_add_u32 s8, s49, s4
	s_addc_u32 s9, s50, s5
	v_and_b32_e32 v3, -2, v1
	v_mov_b32_e32 v19, v18
	s_mov_b64 s[4:5], 0
	v_mov_b32_e32 v6, s7
	v_mov_b32_e32 v7, s9
	s_mov_b32 s9, 0x42fe0000
	v_mov_b32_e32 v8, 0x42fe0000
	s_mov_b32 s10, 0xc3000000
	v_mov_b32_e32 v9, 0xc3000000
	v_mov_b32_e32 v4, v2
	;; [unrolled: 1-line block ×3, first 2 shown]
.LBB6_41:                               ; =>This Inner Loop Header: Depth=1
	v_ashrrev_i32_e32 v5, 31, v4
	v_lshlrev_b64 v[12:13], 2, v[4:5]
	v_add_co_u32_e32 v12, vcc, s8, v12
	v_addc_co_u32_e32 v13, vcc, v7, v13, vcc
	global_load_dwordx2 v[12:13], v[12:13], off
	v_add_u32_e32 v10, -2, v10
	s_waitcnt vmcnt(0)
	v_pk_mul_f32 v[12:13], v[18:19], v[12:13]
	v_rndne_f32_e32 v11, v12
	v_rndne_f32_e32 v12, v13
	v_cmp_nlt_f32_e32 vcc, s9, v12
	v_cndmask_b32_e32 v13, v8, v12, vcc
	v_cmp_nlt_f32_e32 vcc, s9, v11
	v_cndmask_b32_e32 v14, v8, v11, vcc
	v_cmp_ngt_f32_e32 vcc, s10, v11
	v_cndmask_b32_e32 v11, v9, v14, vcc
	v_cmp_ngt_f32_e32 vcc, s10, v12
	v_cndmask_b32_e32 v12, v9, v13, vcc
	v_cvt_i32_f32_sdwa v14, v12 dst_sel:BYTE_1 dst_unused:UNUSED_PAD src0_sel:DWORD
	v_cvt_i32_f32_e32 v11, v11
	v_add_co_u32_e32 v12, vcc, s6, v4
	v_addc_co_u32_e32 v13, vcc, v6, v5, vcc
	v_cmp_eq_u32_e32 vcc, 0, v10
	s_or_b64 s[4:5], vcc, s[4:5]
	v_or_b32_sdwa v5, v11, v14 dst_sel:DWORD dst_unused:UNUSED_PAD src0_sel:BYTE_0 src1_sel:DWORD
	v_add_u32_e32 v4, 2, v4
	global_store_short v[12:13], v5, off
	s_andn2_b64 exec, exec, s[4:5]
	s_cbranch_execnz .LBB6_41
; %bb.42:
	s_or_b64 exec, exec, s[4:5]
	v_cmp_ne_u32_e32 vcc, v1, v3
	v_add_u32_e32 v2, v2, v3
	s_orn2_b64 s[4:5], vcc, exec
.LBB6_43:
	s_or_b64 exec, exec, s[0:1]
	s_and_b64 exec, exec, s[4:5]
	s_cbranch_execz .LBB6_46
; %bb.44:
	s_lshl_b64 s[0:1], s[40:41], 2
	s_add_u32 s0, s34, s0
	s_addc_u32 s1, s35, s1
	v_ashrrev_i32_e32 v3, 31, v2
	s_add_u32 s0, s30, s0
	v_lshlrev_b64 v[4:5], 2, v[2:3]
	s_addc_u32 s1, s31, s1
	s_mov_b32 s10, 0
	v_mov_b32_e32 v1, s1
	v_add_co_u32_e32 v4, vcc, s0, v4
	v_addc_co_u32_e32 v5, vcc, v1, v5, vcc
	s_lshl_b32 s8, s33, 2
	s_mov_b64 s[4:5], 0
	v_mov_b32_e32 v1, s7
	s_mov_b32 s7, 0x42fe0000
	v_mov_b32_e32 v6, 0x42fe0000
	s_mov_b32 s9, 0xc3000000
	v_mov_b32_e32 v7, 0xc3000000
	v_mov_b32_e32 v8, s10
	;; [unrolled: 1-line block ×3, first 2 shown]
.LBB6_45:                               ; =>This Inner Loop Header: Depth=1
	global_load_dword v12, v[4:5], off
	v_add_co_u32_e32 v10, vcc, s6, v2
	v_addc_co_u32_e32 v11, vcc, v1, v3, vcc
	v_add_co_u32_e32 v2, vcc, s33, v2
	v_addc_co_u32_e32 v3, vcc, v3, v8, vcc
	;; [unrolled: 2-line block ×3, first 2 shown]
	v_cmp_le_i32_e32 vcc, s51, v2
	s_or_b64 s[4:5], vcc, s[4:5]
	s_waitcnt vmcnt(0)
	v_mul_f32_e32 v12, v18, v12
	v_rndne_f32_e32 v12, v12
	v_cmp_nlt_f32_e64 s[0:1], s7, v12
	v_cndmask_b32_e64 v13, v6, v12, s[0:1]
	v_cmp_ngt_f32_e64 s[0:1], s9, v12
	v_cndmask_b32_e64 v12, v7, v13, s[0:1]
	v_cvt_i32_f32_e32 v12, v12
	global_store_byte v[10:11], v12, off
	s_andn2_b64 exec, exec, s[4:5]
	s_cbranch_execnz .LBB6_45
.LBB6_46:
	s_or_b64 exec, exec, s[2:3]
	s_mov_b64 s[0:1], 0
.LBB6_47:
	s_and_b64 vcc, exec, s[0:1]
	s_cbranch_vccz .LBB6_51
; %bb.48:
	s_ashr_i32 s40, s48, 4
	v_cmp_gt_i32_e32 vcc, s40, v0
	s_and_saveexec_b64 s[0:1], vcc
	s_cbranch_execz .LBB6_51
; %bb.49:
	s_add_u32 s1, s38, s36
	v_lshlrev_b32_e32 v1, 4, v0
	s_addc_u32 s2, s39, s37
	s_lshl_b32 s36, s33, 4
	v_mov_b32_e32 v2, s2
	v_add_co_u32_e32 v20, vcc, s1, v1
	s_add_u32 s1, s30, s34
	v_addc_co_u32_e32 v21, vcc, 0, v2, vcc
	v_lshlrev_b32_e32 v1, 6, v0
	s_addc_u32 s2, s31, s35
	s_mov_b32 s0, 0
	v_mov_b32_e32 v2, s2
	v_add_co_u32_e32 v22, vcc, s1, v1
	v_addc_co_u32_e32 v23, vcc, 0, v2, vcc
	s_lshl_b32 s34, s33, 6
	s_mov_b64 s[30:31], 0
	s_mov_b32 s35, 0x42fe0000
	v_mov_b32_e32 v1, 0x42fe0000
	s_mov_b32 s37, 0xc3000000
	v_mov_b32_e32 v19, 0xc3000000
	v_mov_b32_e32 v24, s0
	;; [unrolled: 1-line block ×3, first 2 shown]
.LBB6_50:                               ; =>This Inner Loop Header: Depth=1
	global_load_dwordx4 v[14:17], v[22:23], off
	global_load_dwordx4 v[10:13], v[22:23], off offset:16
	global_load_dwordx4 v[6:9], v[22:23], off offset:32
	global_load_dwordx4 v[2:5], v[22:23], off offset:48
	v_add_co_u32_e32 v22, vcc, s34, v22
	v_add_u32_e32 v0, s33, v0
	v_addc_co_u32_e32 v23, vcc, v23, v25, vcc
	v_cmp_le_i32_e32 vcc, s40, v0
	s_or_b64 s[30:31], vcc, s[30:31]
	s_waitcnt vmcnt(3)
	v_mul_f32_e32 v14, v18, v14
	v_mul_f32_e32 v15, v18, v15
	v_mul_f32_e32 v16, v18, v16
	v_mul_f32_e32 v17, v18, v17
	s_waitcnt vmcnt(2)
	v_mul_f32_e32 v10, v18, v10
	v_mul_f32_e32 v11, v18, v11
	v_mul_f32_e32 v12, v18, v12
	v_mul_f32_e32 v13, v18, v13
	;; [unrolled: 5-line block ×4, first 2 shown]
	v_rndne_f32_e32 v14, v14
	v_rndne_f32_e32 v15, v15
	;; [unrolled: 1-line block ×16, first 2 shown]
	v_cmp_nlt_f32_e32 vcc, s35, v14
	v_cndmask_b32_e32 v26, v1, v14, vcc
	v_cmp_nlt_f32_e32 vcc, s35, v15
	v_cmp_nlt_f32_e64 s[0:1], s35, v16
	v_cmp_nlt_f32_e64 s[2:3], s35, v17
	;; [unrolled: 1-line block ×14, first 2 shown]
	v_cndmask_b32_e32 v27, v1, v15, vcc
	v_cmp_ngt_f32_e32 vcc, s37, v15
	v_cndmask_b32_e64 v15, v1, v16, s[0:1]
	v_cmp_ngt_f32_e64 s[0:1], s37, v16
	v_cndmask_b32_e64 v16, v1, v17, s[2:3]
	v_cmp_ngt_f32_e64 s[2:3], s37, v17
	v_cndmask_b32_e64 v17, v1, v10, s[4:5]
	v_cmp_ngt_f32_e64 s[4:5], s37, v10
	v_cndmask_b32_e64 v10, v1, v11, s[6:7]
	v_cmp_ngt_f32_e64 s[6:7], s37, v11
	v_cndmask_b32_e64 v11, v1, v12, s[8:9]
	v_cmp_ngt_f32_e64 s[8:9], s37, v12
	v_cndmask_b32_e64 v12, v1, v13, s[10:11]
	v_cmp_ngt_f32_e64 s[10:11], s37, v13
	v_cndmask_b32_e64 v13, v1, v6, s[12:13]
	v_cmp_ngt_f32_e64 s[12:13], s37, v6
	v_cndmask_b32_e64 v6, v1, v7, s[14:15]
	v_cmp_ngt_f32_e64 s[14:15], s37, v7
	v_cndmask_b32_e64 v7, v1, v8, s[16:17]
	v_cmp_ngt_f32_e64 s[16:17], s37, v8
	v_cndmask_b32_e64 v8, v1, v9, s[18:19]
	v_cmp_ngt_f32_e64 s[18:19], s37, v9
	v_cndmask_b32_e64 v9, v1, v2, s[20:21]
	v_cmp_ngt_f32_e64 s[20:21], s37, v2
	v_cndmask_b32_e64 v2, v1, v3, s[22:23]
	v_cmp_ngt_f32_e64 s[22:23], s37, v3
	v_cndmask_b32_e64 v3, v1, v4, s[24:25]
	v_cmp_ngt_f32_e64 s[24:25], s37, v4
	v_cndmask_b32_e64 v4, v1, v5, s[26:27]
	v_cmp_ngt_f32_e64 s[26:27], s37, v5
	v_cmp_ngt_f32_e64 s[28:29], s37, v14
	v_cndmask_b32_e64 v5, v19, v26, s[28:29]
	v_cndmask_b32_e32 v14, v19, v27, vcc
	v_cndmask_b32_e64 v15, v19, v15, s[0:1]
	v_cndmask_b32_e64 v16, v19, v16, s[2:3]
	;; [unrolled: 1-line block ×14, first 2 shown]
	v_cvt_i32_f32_e32 v5, v5
	v_cvt_i32_f32_sdwa v14, v14 dst_sel:BYTE_1 dst_unused:UNUSED_PAD src0_sel:DWORD
	v_cvt_i32_f32_e32 v15, v15
	v_cvt_i32_f32_sdwa v16, v16 dst_sel:BYTE_1 dst_unused:UNUSED_PAD src0_sel:DWORD
	;; [unrolled: 2-line block ×8, first 2 shown]
	v_or_b32_sdwa v2, v9, v2 dst_sel:DWORD dst_unused:UNUSED_PAD src0_sel:BYTE_0 src1_sel:DWORD
	v_or_b32_sdwa v3, v3, v4 dst_sel:WORD_1 dst_unused:UNUSED_PAD src0_sel:BYTE_0 src1_sel:DWORD
	v_or_b32_sdwa v4, v13, v6 dst_sel:DWORD dst_unused:UNUSED_PAD src0_sel:BYTE_0 src1_sel:DWORD
	v_or_b32_sdwa v6, v7, v8 dst_sel:WORD_1 dst_unused:UNUSED_PAD src0_sel:BYTE_0 src1_sel:DWORD
	;; [unrolled: 2-line block ×4, first 2 shown]
	v_or_b32_sdwa v5, v2, v3 dst_sel:DWORD dst_unused:UNUSED_PAD src0_sel:WORD_0 src1_sel:DWORD
	v_or_b32_sdwa v4, v4, v6 dst_sel:DWORD dst_unused:UNUSED_PAD src0_sel:WORD_0 src1_sel:DWORD
	;; [unrolled: 1-line block ×4, first 2 shown]
	global_store_dwordx4 v[20:21], v[2:5], off
	v_add_co_u32_e32 v20, vcc, s36, v20
	v_addc_co_u32_e32 v21, vcc, v21, v24, vcc
	s_andn2_b64 exec, exec, s[30:31]
	s_cbranch_execnz .LBB6_50
.LBB6_51:
	s_endpgm
	.section	.rodata,"a",@progbits
	.p2align	6, 0x0
	.amdhsa_kernel _ZN4vllm32dynamic_scaled_int8_quant_kernelIffEEvPKT_PaPT0_i
		.amdhsa_group_segment_fixed_size 20
		.amdhsa_private_segment_fixed_size 0
		.amdhsa_kernarg_size 288
		.amdhsa_user_sgpr_count 6
		.amdhsa_user_sgpr_private_segment_buffer 1
		.amdhsa_user_sgpr_dispatch_ptr 0
		.amdhsa_user_sgpr_queue_ptr 0
		.amdhsa_user_sgpr_kernarg_segment_ptr 1
		.amdhsa_user_sgpr_dispatch_id 0
		.amdhsa_user_sgpr_flat_scratch_init 0
		.amdhsa_user_sgpr_kernarg_preload_length 0
		.amdhsa_user_sgpr_kernarg_preload_offset 0
		.amdhsa_user_sgpr_private_segment_size 0
		.amdhsa_uses_dynamic_stack 0
		.amdhsa_system_sgpr_private_segment_wavefront_offset 0
		.amdhsa_system_sgpr_workgroup_id_x 1
		.amdhsa_system_sgpr_workgroup_id_y 0
		.amdhsa_system_sgpr_workgroup_id_z 0
		.amdhsa_system_sgpr_workgroup_info 0
		.amdhsa_system_vgpr_workitem_id 0
		.amdhsa_next_free_vgpr 30
		.amdhsa_next_free_sgpr 57
		.amdhsa_accum_offset 32
		.amdhsa_reserve_vcc 1
		.amdhsa_reserve_flat_scratch 0
		.amdhsa_float_round_mode_32 0
		.amdhsa_float_round_mode_16_64 0
		.amdhsa_float_denorm_mode_32 3
		.amdhsa_float_denorm_mode_16_64 3
		.amdhsa_dx10_clamp 1
		.amdhsa_ieee_mode 1
		.amdhsa_fp16_overflow 0
		.amdhsa_tg_split 0
		.amdhsa_exception_fp_ieee_invalid_op 0
		.amdhsa_exception_fp_denorm_src 0
		.amdhsa_exception_fp_ieee_div_zero 0
		.amdhsa_exception_fp_ieee_overflow 0
		.amdhsa_exception_fp_ieee_underflow 0
		.amdhsa_exception_fp_ieee_inexact 0
		.amdhsa_exception_int_div_zero 0
	.end_amdhsa_kernel
	.section	.text._ZN4vllm32dynamic_scaled_int8_quant_kernelIffEEvPKT_PaPT0_i,"axG",@progbits,_ZN4vllm32dynamic_scaled_int8_quant_kernelIffEEvPKT_PaPT0_i,comdat
.Lfunc_end6:
	.size	_ZN4vllm32dynamic_scaled_int8_quant_kernelIffEEvPKT_PaPT0_i, .Lfunc_end6-_ZN4vllm32dynamic_scaled_int8_quant_kernelIffEEvPKT_PaPT0_i
                                        ; -- End function
	.section	.AMDGPU.csdata,"",@progbits
; Kernel info:
; codeLenInByte = 5180
; NumSgprs: 61
; NumVgprs: 30
; NumAgprs: 0
; TotalNumVgprs: 30
; ScratchSize: 0
; MemoryBound: 0
; FloatMode: 240
; IeeeMode: 1
; LDSByteSize: 20 bytes/workgroup (compile time only)
; SGPRBlocks: 7
; VGPRBlocks: 3
; NumSGPRsForWavesPerEU: 61
; NumVGPRsForWavesPerEU: 30
; AccumOffset: 32
; Occupancy: 8
; WaveLimiterHint : 0
; COMPUTE_PGM_RSRC2:SCRATCH_EN: 0
; COMPUTE_PGM_RSRC2:USER_SGPR: 6
; COMPUTE_PGM_RSRC2:TRAP_HANDLER: 0
; COMPUTE_PGM_RSRC2:TGID_X_EN: 1
; COMPUTE_PGM_RSRC2:TGID_Y_EN: 0
; COMPUTE_PGM_RSRC2:TGID_Z_EN: 0
; COMPUTE_PGM_RSRC2:TIDIG_COMP_CNT: 0
; COMPUTE_PGM_RSRC3_GFX90A:ACCUM_OFFSET: 7
; COMPUTE_PGM_RSRC3_GFX90A:TG_SPLIT: 0
	.section	.text._ZN4vllm36dynamic_scaled_int8_azp_quant_kernelIffiEEvPKT_PaPT0_PT1_i,"axG",@progbits,_ZN4vllm36dynamic_scaled_int8_azp_quant_kernelIffiEEvPKT_PaPT0_PT1_i,comdat
	.protected	_ZN4vllm36dynamic_scaled_int8_azp_quant_kernelIffiEEvPKT_PaPT0_PT1_i ; -- Begin function _ZN4vllm36dynamic_scaled_int8_azp_quant_kernelIffiEEvPKT_PaPT0_PT1_i
	.globl	_ZN4vllm36dynamic_scaled_int8_azp_quant_kernelIffiEEvPKT_PaPT0_PT1_i
	.p2align	8
	.type	_ZN4vllm36dynamic_scaled_int8_azp_quant_kernelIffiEEvPKT_PaPT0_PT1_i,@function
_ZN4vllm36dynamic_scaled_int8_azp_quant_kernelIffiEEvPKT_PaPT0_PT1_i: ; @_ZN4vllm36dynamic_scaled_int8_azp_quant_kernelIffiEEvPKT_PaPT0_PT1_i
; %bb.0:
	s_load_dword s86, s[4:5], 0x20
	s_load_dword s0, s[4:5], 0x34
	s_load_dwordx2 s[64:65], s[4:5], 0x0
	s_mov_b32 s7, 0
	s_waitcnt lgkmcnt(0)
	s_ashr_i32 s1, s86, 31
	s_and_b32 s33, s0, 0xffff
	s_mul_hi_u32 s0, s86, s6
	s_mul_i32 s1, s1, s6
	s_add_i32 s69, s0, s1
	s_mul_i32 s68, s86, s6
	s_lshl_b64 s[66:67], s[68:69], 2
	s_add_u32 s84, s64, s66
	s_addc_u32 s85, s65, s67
	s_and_b32 s0, s84, 63
	s_mov_b32 s1, s7
	s_cmp_lg_u64 s[0:1], 0
	s_cselect_b64 s[0:1], -1, 0
	s_and_b32 s2, s86, 15
	s_cmp_lg_u32 s2, 0
	s_cselect_b64 s[2:3], -1, 0
	s_or_b64 s[0:1], s[2:3], s[0:1]
	s_and_b64 vcc, exec, s[0:1]
	s_cbranch_vccz .LBB7_14
; %bb.1:
	s_sub_i32 s2, 0, s84
	s_bfe_u32 s2, s2, 0x40002
	s_min_i32 s2, s2, s86
	v_cmp_gt_i32_e32 vcc, s2, v0
	v_mov_b32_e32 v3, 0xff7fffff
	v_mov_b32_e32 v2, 0x7f7fffff
	s_and_saveexec_b64 s[8:9], vcc
	s_cbranch_execz .LBB7_5
; %bb.2:
	s_add_u32 s3, s64, s66
	v_lshlrev_b32_e32 v1, 2, v0
	s_addc_u32 s10, s65, s67
	s_mov_b32 s12, 0
	v_mov_b32_e32 v2, s10
	v_add_co_u32_e32 v4, vcc, s3, v1
	v_addc_co_u32_e32 v5, vcc, 0, v2, vcc
	s_lshl_b32 s3, s33, 2
	s_mov_b64 s[10:11], 0
	v_mov_b32_e32 v3, 0xff7fffff
	v_mov_b32_e32 v2, 0x7f7fffff
	;; [unrolled: 1-line block ×4, first 2 shown]
.LBB7_3:                                ; =>This Inner Loop Header: Depth=1
	global_load_dword v7, v[4:5], off
	v_add_co_u32_e32 v4, vcc, s3, v4
	v_add_u32_e32 v6, s33, v6
	v_addc_co_u32_e32 v5, vcc, v5, v1, vcc
	v_max_f32_e32 v2, v2, v2
	v_max_f32_e32 v3, v3, v3
	v_cmp_le_i32_e32 vcc, s2, v6
	s_or_b64 s[10:11], vcc, s[10:11]
	s_waitcnt vmcnt(0)
	v_max_f32_e32 v7, v7, v7
	v_min_f32_e32 v2, v2, v7
	v_max_f32_e32 v3, v3, v7
	s_andn2_b64 exec, exec, s[10:11]
	s_cbranch_execnz .LBB7_3
; %bb.4:
	s_or_b64 exec, exec, s[10:11]
.LBB7_5:
	s_or_b64 exec, exec, s[8:9]
	s_sub_i32 s12, s86, s2
	s_ashr_i32 s8, s12, 31
	s_lshr_b32 s8, s8, 28
	s_add_i32 s8, s12, s8
	s_ashr_i32 s13, s8, 4
	s_ashr_i32 s3, s2, 31
	v_cmp_gt_i32_e32 vcc, s13, v0
	s_and_saveexec_b64 s[8:9], vcc
	s_cbranch_execz .LBB7_9
; %bb.6:
	s_lshl_b64 s[10:11], s[2:3], 2
	s_add_u32 s10, s64, s10
	s_addc_u32 s11, s65, s11
	s_add_u32 s10, s10, s66
	v_lshlrev_b32_e32 v1, 6, v0
	s_addc_u32 s11, s11, s67
	s_mov_b32 s15, 0
	v_mov_b32_e32 v5, s11
	v_add_co_u32_e32 v4, vcc, s10, v1
	v_addc_co_u32_e32 v5, vcc, 0, v5, vcc
	s_lshl_b32 s14, s33, 6
	s_mov_b64 s[10:11], 0
	v_mov_b32_e32 v1, s15
	v_mov_b32_e32 v6, v0
.LBB7_7:                                ; =>This Inner Loop Header: Depth=1
	global_load_dwordx4 v[8:11], v[4:5], off
	global_load_dwordx4 v[12:15], v[4:5], off offset:16
	global_load_dwordx4 v[16:19], v[4:5], off offset:32
	;; [unrolled: 1-line block ×3, first 2 shown]
	v_add_co_u32_e32 v4, vcc, s14, v4
	v_add_u32_e32 v6, s33, v6
	v_addc_co_u32_e32 v5, vcc, v5, v1, vcc
	v_cmp_le_i32_e32 vcc, s13, v6
	s_or_b64 s[10:11], vcc, s[10:11]
	s_waitcnt vmcnt(3)
	v_min3_f32 v2, v2, v8, v9
	v_max3_f32 v3, v3, v8, v9
	v_min3_f32 v2, v2, v10, v11
	v_max3_f32 v3, v3, v10, v11
	s_waitcnt vmcnt(2)
	v_min3_f32 v2, v2, v12, v13
	v_max3_f32 v3, v3, v12, v13
	v_min3_f32 v2, v2, v14, v15
	v_max3_f32 v3, v3, v14, v15
	s_waitcnt vmcnt(1)
	v_min3_f32 v2, v2, v16, v17
	v_max3_f32 v3, v3, v16, v17
	v_min3_f32 v2, v2, v18, v19
	v_max3_f32 v3, v3, v18, v19
	s_waitcnt vmcnt(0)
	v_min3_f32 v2, v2, v20, v21
	v_max3_f32 v3, v3, v20, v21
	v_min3_f32 v2, v2, v22, v23
	v_max3_f32 v3, v3, v22, v23
	s_andn2_b64 exec, exec, s[10:11]
	s_cbranch_execnz .LBB7_7
; %bb.8:
	s_or_b64 exec, exec, s[10:11]
.LBB7_9:
	s_or_b64 exec, exec, s[8:9]
	v_lshl_add_u32 v4, s13, 4, v0
	v_cmp_gt_i32_e32 vcc, s12, v4
	s_and_saveexec_b64 s[8:9], vcc
	s_cbranch_execz .LBB7_13
; %bb.10:
	s_lshl_b64 s[2:3], s[2:3], 2
	s_add_u32 s2, s66, s2
	s_addc_u32 s3, s67, s3
	v_ashrrev_i32_e32 v5, 31, v4
	s_add_u32 s2, s64, s2
	v_lshlrev_b64 v[6:7], 2, v[4:5]
	s_addc_u32 s3, s65, s3
	v_mov_b32_e32 v1, s3
	v_add_co_u32_e32 v6, vcc, s2, v6
	s_mov_b32 s11, 0
	v_addc_co_u32_e32 v7, vcc, v1, v7, vcc
	s_lshl_b32 s10, s33, 2
	s_mov_b64 s[2:3], 0
	v_mov_b32_e32 v1, s11
.LBB7_11:                               ; =>This Inner Loop Header: Depth=1
	global_load_dword v5, v[6:7], off
	v_add_co_u32_e32 v6, vcc, s10, v6
	v_add_u32_e32 v4, s33, v4
	v_addc_co_u32_e32 v7, vcc, v7, v1, vcc
	v_max_f32_e32 v2, v2, v2
	v_max_f32_e32 v3, v3, v3
	v_cmp_le_i32_e32 vcc, s12, v4
	s_or_b64 s[2:3], vcc, s[2:3]
	s_waitcnt vmcnt(0)
	v_max_f32_e32 v5, v5, v5
	v_min_f32_e32 v2, v2, v5
	v_max_f32_e32 v3, v3, v5
	s_andn2_b64 exec, exec, s[2:3]
	s_cbranch_execnz .LBB7_11
; %bb.12:
	s_or_b64 exec, exec, s[2:3]
.LBB7_13:
	s_or_b64 exec, exec, s[8:9]
	s_branch .LBB7_20
.LBB7_14:
                                        ; implicit-def: $vgpr3
	s_cbranch_execz .LBB7_20
; %bb.15:
	s_ashr_i32 s10, s86, 4
	v_cmp_gt_i32_e32 vcc, s10, v0
	v_mov_b32_e32 v3, 0xff7fffff
	v_mov_b32_e32 v2, 0x7f7fffff
	s_and_saveexec_b64 s[2:3], vcc
	s_cbranch_execz .LBB7_19
; %bb.16:
	s_add_u32 s8, s64, s66
	v_lshlrev_b32_e32 v1, 6, v0
	s_addc_u32 s9, s65, s67
	s_mov_b32 s12, 0
	v_mov_b32_e32 v2, s9
	v_add_co_u32_e32 v4, vcc, s8, v1
	v_addc_co_u32_e32 v5, vcc, 0, v2, vcc
	s_lshl_b32 s11, s33, 6
	s_mov_b64 s[8:9], 0
	v_mov_b32_e32 v3, 0xff7fffff
	v_mov_b32_e32 v2, 0x7f7fffff
	;; [unrolled: 1-line block ×4, first 2 shown]
.LBB7_17:                               ; =>This Inner Loop Header: Depth=1
	global_load_dwordx4 v[8:11], v[4:5], off
	global_load_dwordx4 v[12:15], v[4:5], off offset:16
	global_load_dwordx4 v[16:19], v[4:5], off offset:32
	;; [unrolled: 1-line block ×3, first 2 shown]
	v_add_co_u32_e32 v4, vcc, s11, v4
	v_add_u32_e32 v6, s33, v6
	v_addc_co_u32_e32 v5, vcc, v5, v1, vcc
	v_cmp_le_i32_e32 vcc, s10, v6
	s_or_b64 s[8:9], vcc, s[8:9]
	s_waitcnt vmcnt(3)
	v_min3_f32 v2, v2, v8, v9
	v_max3_f32 v3, v3, v8, v9
	v_min3_f32 v2, v2, v10, v11
	v_max3_f32 v3, v3, v10, v11
	s_waitcnt vmcnt(2)
	v_min3_f32 v2, v2, v12, v13
	v_max3_f32 v3, v3, v12, v13
	v_min3_f32 v2, v2, v14, v15
	v_max3_f32 v3, v3, v14, v15
	;; [unrolled: 5-line block ×4, first 2 shown]
	s_andn2_b64 exec, exec, s[8:9]
	s_cbranch_execnz .LBB7_17
; %bb.18:
	s_or_b64 exec, exec, s[8:9]
.LBB7_19:
	s_or_b64 exec, exec, s[2:3]
.LBB7_20:
	v_mbcnt_lo_u32_b32 v1, -1, 0
	v_mbcnt_hi_u32_b32 v1, -1, v1
	v_and_b32_e32 v4, 63, v1
	v_cmp_ne_u32_e32 vcc, 63, v4
	v_addc_co_u32_e32 v5, vcc, 0, v1, vcc
	v_lshlrev_b32_e32 v5, 2, v5
	ds_bpermute_b32 v7, v5, v2
	ds_bpermute_b32 v6, v5, v3
	v_and_b32_e32 v5, 0x3c0, v0
	v_sub_u32_e64 v5, s33, v5 clamp
	v_add_u32_e32 v8, 1, v1
	v_cmp_lt_u32_e32 vcc, v8, v5
	s_and_saveexec_b64 s[2:3], vcc
	s_cbranch_execz .LBB7_22
; %bb.21:
	s_waitcnt lgkmcnt(1)
	v_max_f32_e32 v7, v7, v7
	v_max_f32_e32 v2, v2, v2
	s_waitcnt lgkmcnt(0)
	v_max_f32_e32 v6, v6, v6
	v_max_f32_e32 v3, v3, v3
	v_min_f32_e32 v2, v2, v7
	v_max_f32_e32 v3, v3, v6
.LBB7_22:
	s_or_b64 exec, exec, s[2:3]
	v_cmp_gt_u32_e32 vcc, 62, v4
	s_waitcnt lgkmcnt(0)
	v_cndmask_b32_e64 v6, 0, 1, vcc
	v_lshlrev_b32_e32 v6, 1, v6
	v_add_lshl_u32 v6, v6, v1, 2
	ds_bpermute_b32 v7, v6, v2
	ds_bpermute_b32 v6, v6, v3
	v_add_u32_e32 v8, 2, v1
	v_cmp_lt_u32_e32 vcc, v8, v5
	s_and_saveexec_b64 s[2:3], vcc
	s_cbranch_execz .LBB7_24
; %bb.23:
	s_waitcnt lgkmcnt(1)
	v_max_f32_e32 v7, v7, v7
	v_max_f32_e32 v2, v2, v2
	s_waitcnt lgkmcnt(0)
	v_max_f32_e32 v6, v6, v6
	v_max_f32_e32 v3, v3, v3
	v_min_f32_e32 v2, v2, v7
	v_max_f32_e32 v3, v3, v6
.LBB7_24:
	s_or_b64 exec, exec, s[2:3]
	v_cmp_gt_u32_e32 vcc, 60, v4
	s_waitcnt lgkmcnt(0)
	v_cndmask_b32_e64 v6, 0, 1, vcc
	v_lshlrev_b32_e32 v6, 2, v6
	v_add_lshl_u32 v6, v6, v1, 2
	ds_bpermute_b32 v7, v6, v2
	ds_bpermute_b32 v6, v6, v3
	;; [unrolled: 22-line block ×4, first 2 shown]
	v_add_u32_e32 v8, 16, v1
	v_cmp_lt_u32_e32 vcc, v8, v5
	s_and_saveexec_b64 s[2:3], vcc
	s_cbranch_execz .LBB7_30
; %bb.29:
	s_waitcnt lgkmcnt(1)
	v_max_f32_e32 v7, v7, v7
	v_max_f32_e32 v2, v2, v2
	s_waitcnt lgkmcnt(0)
	v_max_f32_e32 v6, v6, v6
	v_max_f32_e32 v3, v3, v3
	v_min_f32_e32 v2, v2, v7
	v_max_f32_e32 v3, v3, v6
.LBB7_30:
	s_or_b64 exec, exec, s[2:3]
	v_cmp_gt_u32_e32 vcc, 32, v4
	v_cndmask_b32_e64 v4, 0, 1, vcc
	v_lshlrev_b32_e32 v4, 5, v4
	v_add_lshl_u32 v4, v4, v1, 2
	s_waitcnt lgkmcnt(0)
	ds_bpermute_b32 v6, v4, v2
	ds_bpermute_b32 v4, v4, v3
	v_add_u32_e32 v7, 32, v1
	v_cmp_lt_u32_e32 vcc, v7, v5
	s_and_saveexec_b64 s[2:3], vcc
	s_cbranch_execz .LBB7_32
; %bb.31:
	s_waitcnt lgkmcnt(1)
	v_max_f32_e32 v5, v6, v6
	v_max_f32_e32 v2, v2, v2
	s_waitcnt lgkmcnt(0)
	v_max_f32_e32 v4, v4, v4
	v_max_f32_e32 v3, v3, v3
	v_min_f32_e32 v2, v2, v5
	v_max_f32_e32 v3, v3, v4
.LBB7_32:
	s_or_b64 exec, exec, s[2:3]
	v_cmp_eq_u32_e32 vcc, 0, v1
	s_and_saveexec_b64 s[2:3], vcc
	s_cbranch_execz .LBB7_34
; %bb.33:
	s_waitcnt lgkmcnt(0)
	v_lshrrev_b32_e32 v4, 3, v0
	v_and_b32_e32 v4, 0x78, v4
	ds_write2_b32 v4, v2, v3 offset1:1
.LBB7_34:
	s_or_b64 exec, exec, s[2:3]
	s_load_dwordx2 s[70:71], s[4:5], 0x8
	v_cmp_gt_u32_e32 vcc, 4, v0
	s_waitcnt lgkmcnt(0)
	s_barrier
	s_and_saveexec_b64 s[2:3], vcc
	s_cbranch_execz .LBB7_42
; %bb.35:
	v_lshlrev_b32_e32 v2, 3, v1
	ds_read2_b32 v[2:3], v2 offset1:1
	v_and_b32_e32 v4, 3, v1
	v_cmp_ne_u32_e32 vcc, 3, v4
	v_addc_co_u32_e32 v5, vcc, 0, v1, vcc
	v_lshlrev_b32_e32 v6, 2, v5
	s_waitcnt lgkmcnt(0)
	ds_bpermute_b32 v5, v6, v2
	ds_bpermute_b32 v6, v6, v3
	s_add_i32 s8, s33, 63
	s_lshr_b32 s10, s8, 6
	v_add_u32_e32 v7, 1, v4
	v_cmp_le_u32_e32 vcc, s10, v7
	s_and_saveexec_b64 s[8:9], vcc
	s_xor_b64 s[8:9], exec, s[8:9]
; %bb.36:
                                        ; implicit-def: $vgpr5
                                        ; implicit-def: $vgpr6
; %bb.37:
	s_andn2_saveexec_b64 s[8:9], s[8:9]
	s_cbranch_execz .LBB7_39
; %bb.38:
	s_waitcnt lgkmcnt(1)
	v_max_f32_e32 v5, v5, v5
	v_max_f32_e32 v2, v2, v2
	v_min_f32_e32 v2, v2, v5
	s_waitcnt lgkmcnt(0)
	v_max_f32_e32 v5, v6, v6
	v_max_f32_e32 v3, v3, v3
	;; [unrolled: 1-line block ×3, first 2 shown]
.LBB7_39:
	s_or_b64 exec, exec, s[8:9]
	v_cmp_gt_u32_e32 vcc, 2, v4
	s_waitcnt lgkmcnt(1)
	v_cndmask_b32_e64 v5, 0, 1, vcc
	v_lshlrev_b32_e32 v5, 1, v5
	v_add_lshl_u32 v1, v5, v1, 2
	ds_bpermute_b32 v5, v1, v2
	ds_bpermute_b32 v1, v1, v3
	v_add_u32_e32 v4, 2, v4
	v_cmp_gt_u32_e32 vcc, s10, v4
	s_and_saveexec_b64 s[8:9], vcc
	s_cbranch_execz .LBB7_41
; %bb.40:
	s_waitcnt lgkmcnt(1)
	v_max_f32_e32 v4, v5, v5
	v_max_f32_e32 v2, v2, v2
	s_waitcnt lgkmcnt(0)
	v_max_f32_e32 v1, v1, v1
	v_max_f32_e32 v3, v3, v3
	v_min_f32_e32 v2, v2, v4
	v_max_f32_e32 v3, v3, v1
.LBB7_41:
	s_or_b64 exec, exec, s[8:9]
.LBB7_42:
	s_or_b64 exec, exec, s[2:3]
	v_cmp_eq_u32_e32 vcc, 0, v0
	s_and_saveexec_b64 s[2:3], vcc
	s_cbranch_execz .LBB7_44
; %bb.43:
	s_waitcnt lgkmcnt(0)
	v_sub_f32_e32 v1, v3, v2
	s_mov_b32 s10, 0x437f0000
	v_div_scale_f32 v3, s[8:9], s10, s10, v1
	v_rcp_f32_e32 v4, v3
	v_fma_f32 v5, -v3, v4, 1.0
	v_fmac_f32_e32 v4, v5, v4
	v_div_scale_f32 v5, vcc, v1, s10, v1
	v_mul_f32_e32 v6, v5, v4
	v_fma_f32 v7, -v3, v6, v5
	v_fmac_f32_e32 v6, v7, v4
	v_fma_f32 v3, -v3, v6, v5
	v_div_fmas_f32 v3, v3, v4, v6
	v_div_fixup_f32 v3, v3, s10, v1
	v_div_scale_f32 v1, s[8:9], v3, v3, v2
	v_rcp_f32_e32 v4, v1
	s_load_dwordx4 s[8:11], s[4:5], 0x10
	s_lshl_b64 s[4:5], s[6:7], 2
	v_fma_f32 v5, -v1, v4, 1.0
	v_fmac_f32_e32 v4, v5, v4
	v_div_scale_f32 v5, vcc, v2, v3, v2
	v_mul_f32_e32 v6, v5, v4
	v_fma_f32 v7, -v1, v6, v5
	v_fmac_f32_e32 v6, v7, v4
	v_fma_f32 v1, -v1, v6, v5
	v_div_fmas_f32 v1, v1, v4, v6
	v_div_fixup_f32 v1, v1, v3, v2
	v_sub_f32_e32 v1, 0xc3000000, v1
	v_rndne_f32_e32 v1, v1
	v_cvt_i32_f32_e32 v2, v1
	s_waitcnt lgkmcnt(0)
	s_add_u32 s6, s8, s4
	s_addc_u32 s7, s9, s5
	s_add_u32 s4, s10, s4
	v_mov_b32_e32 v1, 0
	s_addc_u32 s5, s11, s5
	ds_write_b64 v1, v[2:3] offset:32
	global_store_dword v1, v3, s[6:7]
	global_store_dword v1, v2, s[4:5]
.LBB7_44:
	s_or_b64 exec, exec, s[2:3]
	s_waitcnt lgkmcnt(0)
	v_mov_b32_e32 v1, 0
	s_barrier
	ds_read_b64 v[18:19], v1 offset:32
	s_add_u32 s72, s70, s68
	s_addc_u32 s73, s71, s69
	s_waitcnt lgkmcnt(0)
	v_div_scale_f32 v1, s[2:3], v19, v19, 1.0
	v_rcp_f32_e32 v2, v1
	s_mov_b64 s[2:3], -1
	v_fma_f32 v3, -v1, v2, 1.0
	v_fmac_f32_e32 v2, v3, v2
	v_div_scale_f32 v3, vcc, 1.0, v19, 1.0
	v_mul_f32_e32 v4, v3, v2
	v_fma_f32 v5, -v1, v4, v3
	v_fmac_f32_e32 v4, v5, v2
	v_fma_f32 v1, -v1, v4, v3
	v_div_fmas_f32 v1, v1, v2, v4
	v_div_fixup_f32 v20, v1, v19, 1.0
	s_and_b64 vcc, exec, s[0:1]
	s_cbranch_vccz .LBB7_142
; %bb.45:
	s_sub_i32 s0, 0, s84
	s_bfe_u32 s0, s0, 0x40002
	s_min_i32 s74, s0, s86
	v_cmp_gt_i32_e32 vcc, s74, v0
	s_and_saveexec_b64 s[2:3], vcc
	s_cbranch_execz .LBB7_57
; %bb.46:
	v_cvt_f32_u32_e32 v1, s33
	v_add_u32_e32 v2, s33, v0
	v_mov_b32_e32 v3, s33
	s_sub_i32 s4, 0, s33
	v_rcp_iflag_f32_e32 v1, v1
	v_cmp_gt_i32_e32 vcc, s74, v2
	v_max_i32_e32 v4, s74, v2
	v_addc_co_u32_e64 v2, s[0:1], v0, v3, vcc
	v_mul_f32_e32 v1, 0x4f7ffffe, v1
	v_cvt_u32_f32_e32 v1, v1
	v_sub_u32_e32 v2, v4, v2
	s_cmp_eq_u32 s33, 1
	v_mul_lo_u32 v3, s4, v1
	v_mul_hi_u32 v3, v1, v3
	v_add_u32_e32 v1, v1, v3
	v_mul_hi_u32 v1, v2, v1
	v_mul_lo_u32 v3, v1, s33
	v_sub_u32_e32 v2, v2, v3
	v_add_u32_e32 v4, 1, v1
	v_cmp_le_u32_e64 s[0:1], s33, v2
	v_subrev_u32_e32 v3, s33, v2
	v_cndmask_b32_e64 v1, v1, v4, s[0:1]
	v_cndmask_b32_e64 v2, v2, v3, s[0:1]
	v_add_u32_e32 v3, 1, v1
	v_cmp_le_u32_e64 s[0:1], s33, v2
	v_cndmask_b32_e64 v1, v1, v3, s[0:1]
	v_addc_co_u32_e32 v4, vcc, 1, v1, vcc
	v_cmp_lt_u32_e32 vcc, 1, v4
	s_cselect_b64 s[0:1], -1, 0
	s_and_b64 s[6:7], vcc, s[0:1]
	s_mov_b64 s[4:5], -1
	v_mov_b32_e32 v2, v0
	s_and_saveexec_b64 s[0:1], s[6:7]
	s_cbranch_execz .LBB7_50
; %bb.47:
	v_and_b32_e32 v5, -2, v4
	v_mov_b32_e32 v21, v20
	v_mov_b32_e32 v1, v18
	s_mov_b64 s[4:5], 0
	v_mov_b32_e32 v3, 0
	v_mov_b32_e32 v6, s85
	s_mov_b32 s6, 0x4f000000
	s_mov_b32 s7, 0xcf000000
	v_mov_b32_e32 v7, 0xcf000000
	v_bfrev_b32_e32 v8, -2
	s_movk_i32 s8, 0xff80
	v_mov_b32_e32 v9, 0x7f
	v_mov_b32_e32 v2, v0
	;; [unrolled: 1-line block ×3, first 2 shown]
.LBB7_48:                               ; =>This Inner Loop Header: Depth=1
	v_lshlrev_b64 v[12:13], 2, v[2:3]
	v_add_co_u32_e32 v12, vcc, s84, v12
	v_addc_co_u32_e32 v13, vcc, v6, v13, vcc
	global_load_dwordx2 v[12:13], v[12:13], off
	v_add_u32_e32 v10, -2, v10
	v_cmp_eq_u32_e32 vcc, 0, v10
	s_or_b64 s[4:5], vcc, s[4:5]
	s_waitcnt vmcnt(0)
	v_pk_mul_f32 v[12:13], v[20:21], v[12:13]
	v_rndne_f32_e32 v11, v12
	v_rndne_f32_e32 v12, v13
	v_cmp_nge_f32_e32 vcc, s7, v11
	v_cndmask_b32_e32 v13, v7, v11, vcc
	v_cmp_nge_f32_e32 vcc, s7, v12
	v_cvt_i32_f32_e32 v13, v13
	v_cndmask_b32_e32 v14, v7, v12, vcc
	v_cvt_i32_f32_e32 v14, v14
	v_cmp_nle_f32_e32 vcc, s6, v11
	v_cndmask_b32_e32 v11, v8, v13, vcc
	v_cmp_nle_f32_e32 vcc, s6, v12
	v_cndmask_b32_e32 v12, v8, v14, vcc
	v_add_u32_e32 v12, v12, v1
	v_add_u32_e32 v11, v11, v18
	v_med3_i32 v12, v12, s8, v9
	v_med3_i32 v11, v11, s8, v9
	v_lshlrev_b16_e32 v12, 8, v12
	v_or_b32_sdwa v11, v11, v12 dst_sel:DWORD dst_unused:UNUSED_PAD src0_sel:BYTE_0 src1_sel:DWORD
	global_store_short v2, v11, s[72:73]
	v_add_u32_e32 v2, 2, v2
	s_andn2_b64 exec, exec, s[4:5]
	s_cbranch_execnz .LBB7_48
; %bb.49:
	s_or_b64 exec, exec, s[4:5]
	v_cmp_ne_u32_e32 vcc, v4, v5
	v_add_u32_e32 v2, v0, v5
	s_orn2_b64 s[4:5], vcc, exec
.LBB7_50:
	s_or_b64 exec, exec, s[0:1]
	s_and_b64 exec, exec, s[4:5]
	s_cbranch_execz .LBB7_57
; %bb.51:
	s_add_u32 s0, s70, s68
	s_addc_u32 s1, s71, s69
	v_mov_b32_e32 v3, 0
	v_mov_b32_e32 v4, s1
	v_add_co_u32_e32 v1, vcc, s0, v2
	s_add_u32 s0, s64, s66
	v_addc_co_u32_e32 v6, vcc, 0, v4, vcc
	v_lshlrev_b64 v[4:5], 2, v[2:3]
	s_addc_u32 s1, s65, s67
	s_mov_b32 s4, 0
	v_mov_b32_e32 v3, s1
	v_add_co_u32_e32 v4, vcc, s0, v4
	v_addc_co_u32_e32 v5, vcc, v3, v5, vcc
	s_lshl_b32 s10, s33, 2
	s_mov_b64 s[0:1], 0
	s_mov_b32 s11, 0x4f000000
	s_mov_b32 s12, 0xcf000000
	s_movk_i32 s13, 0xff80
	v_mov_b32_e32 v3, 0x7f
	v_mov_b32_e32 v7, s4
	s_mov_b64 s[4:5], 0
	s_branch .LBB7_54
.LBB7_52:                               ;   in Loop: Header=BB7_54 Depth=1
	s_or_b64 exec, exec, s[8:9]
.LBB7_53:                               ;   in Loop: Header=BB7_54 Depth=1
	s_or_b64 exec, exec, s[6:7]
	v_mov_b32_e32 v9, s5
	v_add_co_u32_e32 v10, vcc, s4, v1
	v_add_u32_e32 v8, v8, v18
	v_addc_co_u32_e32 v11, vcc, v6, v9, vcc
	v_med3_i32 v8, v8, s13, v3
	s_add_u32 s4, s4, s33
	global_store_byte v[10:11], v8, off
	v_add_u32_e32 v8, s4, v2
	s_addc_u32 s5, s5, 0
	v_cmp_le_i32_e32 vcc, s74, v8
	s_or_b64 s[0:1], vcc, s[0:1]
	v_add_co_u32_e32 v4, vcc, s10, v4
	v_addc_co_u32_e32 v5, vcc, v5, v7, vcc
	s_andn2_b64 exec, exec, s[0:1]
	s_cbranch_execz .LBB7_57
.LBB7_54:                               ; =>This Inner Loop Header: Depth=1
	global_load_dword v8, v[4:5], off
	s_waitcnt vmcnt(0)
	v_mul_f32_e32 v8, v20, v8
	v_rndne_f32_e32 v9, v8
	v_cmp_nle_f32_e32 vcc, s11, v9
	v_bfrev_b32_e32 v8, -2
	s_and_saveexec_b64 s[6:7], vcc
	s_cbranch_execz .LBB7_53
; %bb.55:                               ;   in Loop: Header=BB7_54 Depth=1
	v_cmp_nge_f32_e32 vcc, s12, v9
	v_bfrev_b32_e32 v8, 1
	s_and_saveexec_b64 s[8:9], vcc
	s_cbranch_execz .LBB7_52
; %bb.56:                               ;   in Loop: Header=BB7_54 Depth=1
	v_cvt_i32_f32_e32 v8, v9
	s_branch .LBB7_52
.LBB7_57:
	s_or_b64 exec, exec, s[2:3]
	s_ashr_i32 s75, s74, 31
	s_lshl_b64 s[76:77], s[74:75], 2
	s_add_u32 s88, s84, s76
	s_addc_u32 s90, s85, s77
	s_add_u32 s89, s72, s74
	s_addc_u32 s91, s73, s75
	s_sub_i32 s87, s86, s74
	s_ashr_i32 s0, s87, 31
	s_lshr_b32 s0, s0, 28
	s_add_i32 s0, s87, s0
	s_ashr_i32 s92, s0, 4
	v_cmp_gt_i32_e32 vcc, s92, v0
	s_and_saveexec_b64 s[78:79], vcc
	s_cbranch_execz .LBB7_129
; %bb.58:
	v_cvt_f32_u32_e32 v1, s33
	v_add_u32_e32 v2, s33, v0
	v_mov_b32_e32 v3, s33
	s_sub_i32 s2, 0, s33
	v_rcp_iflag_f32_e32 v1, v1
	v_cmp_gt_i32_e32 vcc, s92, v2
	v_max_i32_e32 v4, s92, v2
	v_addc_co_u32_e64 v2, s[0:1], v0, v3, vcc
	v_mul_f32_e32 v1, 0x4f7ffffe, v1
	v_cvt_u32_f32_e32 v1, v1
	v_sub_u32_e32 v2, v4, v2
	s_cmp_eq_u32 s33, 1
	v_mov_b32_e32 v22, v0
	v_mul_lo_u32 v3, s2, v1
	v_mul_hi_u32 v3, v1, v3
	v_add_u32_e32 v1, v1, v3
	v_mul_hi_u32 v1, v2, v1
	v_mul_lo_u32 v3, v1, s33
	v_sub_u32_e32 v2, v2, v3
	v_add_u32_e32 v4, 1, v1
	v_cmp_le_u32_e64 s[0:1], s33, v2
	v_subrev_u32_e32 v3, s33, v2
	v_cndmask_b32_e64 v1, v1, v4, s[0:1]
	v_cndmask_b32_e64 v2, v2, v3, s[0:1]
	v_add_u32_e32 v3, 1, v1
	v_cmp_le_u32_e64 s[0:1], s33, v2
	v_cndmask_b32_e64 v1, v1, v3, s[0:1]
	v_addc_co_u32_e32 v2, vcc, 1, v1, vcc
	v_cmp_lt_u32_e32 vcc, 1, v2
	s_cselect_b64 s[0:1], -1, 0
	s_and_b64 s[2:3], vcc, s[0:1]
	s_mov_b64 s[0:1], -1
	s_and_saveexec_b64 s[80:81], s[2:3]
	s_cbranch_execz .LBB7_62
; %bb.59:
	v_and_b32_e32 v12, -2, v2
	v_add_u32_e32 v1, 1, v0
	v_mov_b32_e32 v21, v20
	v_mov_b32_e32 v3, v18
	s_mov_b64 s[82:83], 0
	v_mov_b32_e32 v13, s90
	s_mov_b32 s93, 0x4f000000
	s_mov_b32 s94, 0xcf000000
	v_mov_b32_e32 v14, 0xcf000000
	v_bfrev_b32_e32 v15, -2
	s_movk_i32 s95, 0xff80
	v_mov_b32_e32 v16, 0x7f
	v_mov_b32_e32 v17, s91
	;; [unrolled: 1-line block ×4, first 2 shown]
	v_pk_mov_b32 v[6:7], v[0:1], v[0:1] op_sel:[0,1]
.LBB7_60:                               ; =>This Inner Loop Header: Depth=1
	v_mov_b32_e32 v4, v6
	v_lshlrev_b64 v[10:11], 6, v[4:5]
	v_mov_b32_e32 v8, v7
	v_mov_b32_e32 v9, v5
	v_add_co_u32_e64 v54, s[0:1], s88, v10
	v_lshlrev_b64 v[22:23], 6, v[8:9]
	v_addc_co_u32_e64 v55, s[0:1], v13, v11, s[0:1]
	v_add_co_u32_e64 v56, s[0:1], s88, v22
	v_lshlrev_b64 v[24:25], 4, v[4:5]
	v_addc_co_u32_e64 v57, s[0:1], v13, v23, s[0:1]
	v_add_co_u32_e64 v10, s[0:1], s89, v24
	v_addc_co_u32_e64 v11, s[0:1], v17, v25, s[0:1]
	global_load_dwordx4 v[22:25], v[54:55], off
	global_load_dwordx4 v[26:29], v[56:57], off
	global_load_dwordx4 v[30:33], v[54:55], off offset:16
	global_load_dwordx4 v[34:37], v[56:57], off offset:16
	;; [unrolled: 1-line block ×6, first 2 shown]
	v_add_u32_e32 v19, -2, v19
	v_cmp_eq_u32_e32 vcc, 0, v19
	s_or_b64 s[82:83], vcc, s[82:83]
	v_lshlrev_b64 v[8:9], 4, v[8:9]
	v_add_co_u32_e64 v8, s[0:1], s89, v8
	v_addc_co_u32_e64 v9, s[0:1], v17, v9, s[0:1]
	v_add_u32_e32 v7, 2, v7
	v_add_u32_e32 v6, 2, v6
	s_waitcnt vmcnt(7)
	v_mov_b32_e32 v54, v22
	s_waitcnt vmcnt(6)
	v_mov_b32_e32 v55, v26
	v_mov_b32_e32 v26, v23
	v_mov_b32_e32 v22, v24
	v_mov_b32_e32 v23, v28
	v_mov_b32_e32 v28, v25
	s_waitcnt vmcnt(5)
	v_mov_b32_e32 v24, v30
	s_waitcnt vmcnt(4)
	v_mov_b32_e32 v25, v34
	v_mov_b32_e32 v34, v31
	v_mov_b32_e32 v30, v32
	v_mov_b32_e32 v31, v36
	v_mov_b32_e32 v36, v33
	;; [unrolled: 8-line block ×4, first 2 shown]
	v_pk_mul_f32 v[48:49], v[20:21], v[54:55]
	v_rndne_f32_e32 v1, v48
	v_pk_mul_f32 v[26:27], v[20:21], v[26:27]
	v_pk_mul_f32 v[50:51], v[20:21], v[50:51]
	;; [unrolled: 1-line block ×3, first 2 shown]
	v_rndne_f32_e32 v4, v49
	v_cmp_nge_f32_e32 vcc, s94, v1
	v_rndne_f32_e32 v26, v26
	v_rndne_f32_e32 v48, v50
	;; [unrolled: 1-line block ×3, first 2 shown]
	v_cndmask_b32_e32 v52, v14, v1, vcc
	v_cmp_nge_f32_e32 vcc, s94, v4
	v_pk_mul_f32 v[22:23], v[20:21], v[22:23]
	v_rndne_f32_e32 v27, v27
	v_rndne_f32_e32 v49, v51
	;; [unrolled: 1-line block ×3, first 2 shown]
	v_cndmask_b32_e32 v53, v14, v4, vcc
	v_cmp_nge_f32_e32 vcc, s94, v26
	v_rndne_f32_e32 v22, v22
	v_cndmask_b32_e32 v54, v14, v26, vcc
	v_cmp_nge_f32_e32 vcc, s94, v27
	v_pk_mul_f32 v[28:29], v[20:21], v[28:29]
	v_rndne_f32_e32 v23, v23
	v_cndmask_b32_e32 v55, v14, v27, vcc
	v_cmp_nge_f32_e32 vcc, s94, v22
	v_pk_mul_f32 v[24:25], v[20:21], v[24:25]
	v_pk_mul_f32 v[34:35], v[20:21], v[34:35]
	;; [unrolled: 1-line block ×3, first 2 shown]
	v_rndne_f32_e32 v28, v28
	v_cndmask_b32_e32 v56, v14, v22, vcc
	v_cmp_nge_f32_e32 vcc, s94, v23
	v_pk_mul_f32 v[36:37], v[20:21], v[36:37]
	v_rndne_f32_e32 v29, v29
	v_rndne_f32_e32 v24, v24
	;; [unrolled: 1-line block ×7, first 2 shown]
	v_cndmask_b32_e32 v57, v14, v23, vcc
	v_cmp_nge_f32_e32 vcc, s94, v28
	v_rndne_f32_e32 v36, v36
	v_cndmask_b32_e32 v58, v14, v28, vcc
	v_cmp_nge_f32_e32 vcc, s94, v29
	v_cmp_nge_f32_e64 s[0:1], s94, v24
	v_cmp_nge_f32_e64 s[2:3], s94, v25
	;; [unrolled: 1-line block ×6, first 2 shown]
	v_pk_mul_f32 v[32:33], v[20:21], v[32:33]
	v_rndne_f32_e32 v37, v37
	v_cndmask_b32_e32 v59, v14, v29, vcc
	v_cmp_nle_f32_e32 vcc, s93, v4
	v_cndmask_b32_e64 v4, v14, v24, s[0:1]
	v_cmp_nle_f32_e64 s[0:1], s93, v27
	v_cndmask_b32_e64 v27, v14, v25, s[2:3]
	v_cmp_nle_f32_e64 s[2:3], s93, v26
	v_cndmask_b32_e64 v26, v14, v34, s[4:5]
	v_cmp_nle_f32_e64 s[4:5], s93, v23
	v_cndmask_b32_e64 v23, v14, v35, s[6:7]
	v_cmp_nle_f32_e64 s[6:7], s93, v22
	v_cndmask_b32_e64 v22, v14, v30, s[8:9]
	v_cmp_nle_f32_e64 s[8:9], s93, v29
	v_cndmask_b32_e64 v29, v14, v31, s[10:11]
	v_cmp_nge_f32_e64 s[10:11], s94, v36
	v_rndne_f32_e32 v32, v32
	v_cmp_nle_f32_e64 s[12:13], s93, v28
	v_cndmask_b32_e64 v28, v14, v36, s[10:11]
	v_cmp_nge_f32_e64 s[10:11], s94, v37
	v_pk_mul_f32 v[42:43], v[20:21], v[42:43]
	v_rndne_f32_e32 v33, v33
	v_cmp_nle_f32_e64 s[14:15], s93, v25
	v_cndmask_b32_e64 v25, v14, v37, s[10:11]
	v_cmp_nge_f32_e64 s[10:11], s94, v32
	v_rndne_f32_e32 v42, v42
	v_cmp_nle_f32_e64 s[16:17], s93, v24
	v_cndmask_b32_e64 v24, v14, v32, s[10:11]
	v_cmp_nge_f32_e64 s[10:11], s94, v33
	v_pk_mul_f32 v[38:39], v[20:21], v[38:39]
	v_rndne_f32_e32 v43, v43
	v_cmp_nle_f32_e64 s[18:19], s93, v35
	;; [unrolled: 9-line block ×4, first 2 shown]
	v_cndmask_b32_e64 v37, v14, v39, s[10:11]
	v_cmp_nge_f32_e64 s[10:11], s94, v44
	v_rndne_f32_e32 v40, v40
	v_cmp_nle_f32_e64 s[28:29], s93, v36
	v_cndmask_b32_e64 v36, v14, v44, s[10:11]
	v_cmp_nge_f32_e64 s[10:11], s94, v45
	v_rndne_f32_e32 v41, v41
	v_cmp_nle_f32_e64 s[30:31], s93, v33
	v_cndmask_b32_e64 v33, v14, v45, s[10:11]
	v_cmp_nge_f32_e64 s[10:11], s94, v40
	v_cmp_nle_f32_e64 s[34:35], s93, v32
	v_cndmask_b32_e64 v32, v14, v40, s[10:11]
	v_cmp_nge_f32_e64 s[10:11], s94, v41
	v_pk_mul_f32 v[46:47], v[20:21], v[46:47]
	v_cmp_nle_f32_e64 s[36:37], s93, v43
	v_cndmask_b32_e64 v43, v14, v41, s[10:11]
	v_cmp_nge_f32_e64 s[10:11], s94, v48
	v_rndne_f32_e32 v46, v46
	v_cmp_nle_f32_e64 s[38:39], s93, v42
	v_cndmask_b32_e64 v42, v14, v48, s[10:11]
	v_cmp_nge_f32_e64 s[10:11], s94, v49
	v_rndne_f32_e32 v47, v47
	v_cmp_nle_f32_e64 s[40:41], s93, v39
	v_cndmask_b32_e64 v39, v14, v49, s[10:11]
	v_cmp_nge_f32_e64 s[10:11], s94, v46
	v_cmp_nle_f32_e64 s[42:43], s93, v38
	v_cndmask_b32_e64 v38, v14, v46, s[10:11]
	v_cmp_nge_f32_e64 s[10:11], s94, v47
	;; [unrolled: 3-line block ×4, first 2 shown]
	v_cmp_nle_f32_e64 s[48:49], s93, v41
	v_cndmask_b32_e64 v41, v14, v51, s[10:11]
	v_cvt_i32_f32_e32 v55, v55
	v_cvt_i32_f32_e32 v59, v59
	;; [unrolled: 1-line block ×19, first 2 shown]
	v_cmp_nle_f32_e64 s[10:11], s93, v40
	v_cvt_i32_f32_e32 v40, v42
	v_cvt_i32_f32_e32 v42, v45
	;; [unrolled: 1-line block ×13, first 2 shown]
	v_cmp_nle_f32_e64 s[50:51], s93, v49
	v_cmp_nle_f32_e64 s[58:59], s93, v51
	;; [unrolled: 1-line block ×4, first 2 shown]
	v_cndmask_b32_e64 v47, v15, v55, s[0:1]
	v_cndmask_b32_e64 v51, v15, v59, s[8:9]
	;; [unrolled: 1-line block ×8, first 2 shown]
	v_cmp_nle_f32_e64 s[52:53], s93, v48
	v_cmp_nle_f32_e64 s[56:57], s93, v46
	;; [unrolled: 1-line block ×3, first 2 shown]
	v_cndmask_b32_e64 v1, v15, v52, s[62:63]
	v_cndmask_b32_e32 v45, v15, v53, vcc
	v_cndmask_b32_e64 v49, v15, v57, s[4:5]
	v_cndmask_b32_e64 v4, v15, v4, s[16:17]
	v_cndmask_b32_e64 v27, v15, v27, s[14:15]
	v_cndmask_b32_e64 v22, v15, v22, s[24:25]
	v_cndmask_b32_e64 v29, v15, v29, s[22:23]
	v_cndmask_b32_e64 v24, v15, v24, s[34:35]
	v_cndmask_b32_e64 v35, v15, v35, s[30:31]
	v_cndmask_b32_e64 v37, v15, v37, s[40:41]
	v_cndmask_b32_e64 v43, v15, v43, s[48:49]
	v_cndmask_b32_e64 v42, v15, v42, s[54:55]
	v_add_u32_e32 v47, v47, v3
	v_add_u32_e32 v51, v51, v3
	v_add_u32_e32 v23, v23, v3
	v_add_u32_e32 v25, v25, v3
	v_add_u32_e32 v31, v31, v3
	v_add_u32_e32 v33, v33, v3
	v_add_u32_e32 v39, v39, v3
	v_add_u32_e32 v41, v41, v3
	v_cndmask_b32_e64 v46, v15, v54, s[2:3]
	v_cndmask_b32_e64 v48, v15, v56, s[6:7]
	;; [unrolled: 1-line block ×12, first 2 shown]
	v_add_u32_e32 v45, v45, v3
	v_add_u32_e32 v1, v1, v18
	;; [unrolled: 1-line block ×12, first 2 shown]
	v_med3_i32 v47, v47, s95, v16
	v_med3_i32 v51, v51, s95, v16
	;; [unrolled: 1-line block ×8, first 2 shown]
	v_add_u32_e32 v46, v46, v18
	v_add_u32_e32 v48, v48, v18
	;; [unrolled: 1-line block ×12, first 2 shown]
	v_med3_i32 v1, v1, s95, v16
	v_med3_i32 v45, v45, s95, v16
	;; [unrolled: 1-line block ×12, first 2 shown]
	v_lshlrev_b16_e32 v47, 8, v47
	v_lshlrev_b16_e32 v51, 8, v51
	;; [unrolled: 1-line block ×8, first 2 shown]
	v_med3_i32 v46, v46, s95, v16
	v_med3_i32 v48, v48, s95, v16
	;; [unrolled: 1-line block ×12, first 2 shown]
	global_store_byte v[10:11], v1, off
	global_store_byte v[10:11], v46, off offset:1
	global_store_byte v[10:11], v48, off offset:2
	;; [unrolled: 1-line block ×15, first 2 shown]
	v_or_b32_sdwa v1, v45, v47 dst_sel:DWORD dst_unused:UNUSED_PAD src0_sel:BYTE_0 src1_sel:DWORD
	v_or_b32_sdwa v4, v49, v51 dst_sel:WORD_1 dst_unused:UNUSED_PAD src0_sel:BYTE_0 src1_sel:DWORD
	v_or_b32_sdwa v10, v27, v23 dst_sel:DWORD dst_unused:UNUSED_PAD src0_sel:BYTE_0 src1_sel:DWORD
	v_or_b32_sdwa v11, v29, v25 dst_sel:WORD_1 dst_unused:UNUSED_PAD src0_sel:BYTE_0 src1_sel:DWORD
	;; [unrolled: 2-line block ×4, first 2 shown]
	v_or_b32_sdwa v25, v24, v25 dst_sel:DWORD dst_unused:UNUSED_PAD src0_sel:WORD_0 src1_sel:DWORD
	v_or_b32_sdwa v24, v22, v23 dst_sel:DWORD dst_unused:UNUSED_PAD src0_sel:WORD_0 src1_sel:DWORD
	;; [unrolled: 1-line block ×4, first 2 shown]
	global_store_dwordx4 v[8:9], v[22:25], off
	s_andn2_b64 exec, exec, s[82:83]
	s_cbranch_execnz .LBB7_60
; %bb.61:
	s_or_b64 exec, exec, s[82:83]
	v_cmp_ne_u32_e32 vcc, v2, v12
	v_add_u32_e32 v22, v0, v12
	s_orn2_b64 s[0:1], vcc, exec
.LBB7_62:
	s_or_b64 exec, exec, s[80:81]
	s_and_b64 exec, exec, s[0:1]
	s_cbranch_execz .LBB7_129
; %bb.63:
	s_add_u32 s0, s74, s68
	s_addc_u32 s1, s75, s69
	v_mov_b32_e32 v23, 0
	s_add_u32 s0, s70, s0
	v_lshlrev_b64 v[2:3], 4, v[22:23]
	s_addc_u32 s1, s71, s1
	s_lshl_b32 s7, s33, 4
	v_add_co_u32_e32 v24, vcc, s0, v2
	s_add_u32 s0, s64, s76
	v_mov_b32_e32 v1, s1
	s_addc_u32 s1, s65, s77
	s_add_u32 s0, s0, s66
	v_addc_co_u32_e32 v25, vcc, v1, v3, vcc
	v_lshlrev_b64 v[2:3], 6, v[22:23]
	s_addc_u32 s1, s1, s67
	s_mov_b32 s6, 0
	v_mov_b32_e32 v1, s1
	v_add_co_u32_e32 v26, vcc, s0, v2
	v_addc_co_u32_e32 v27, vcc, v1, v3, vcc
	s_lshl_b32 s8, s33, 6
	s_mov_b32 s9, s6
	s_mov_b64 s[0:1], 0
	s_mov_b32 s10, 0x4f000000
	s_mov_b32 s11, 0xcf000000
	s_movk_i32 s12, 0xff80
	v_mov_b32_e32 v1, 0x7f
	s_branch .LBB7_66
.LBB7_64:                               ;   in Loop: Header=BB7_66 Depth=1
	s_or_b64 exec, exec, s[4:5]
.LBB7_65:                               ;   in Loop: Header=BB7_66 Depth=1
	s_or_b64 exec, exec, s[2:3]
	v_add_u32_e32 v5, v9, v18
	v_add_u32_e32 v3, v3, v18
	;; [unrolled: 1-line block ×3, first 2 shown]
	v_med3_i32 v5, v5, s12, v1
	v_add_u32_e32 v2, v2, v18
	v_med3_i32 v3, v3, s12, v1
	v_med3_i32 v4, v4, s12, v1
	;; [unrolled: 1-line block ×3, first 2 shown]
	v_add_u32_e32 v8, v8, v18
	v_add_u32_e32 v9, v13, v18
	v_lshlrev_b16_e32 v5, 8, v5
	v_lshlrev_b16_e32 v3, 8, v3
	v_med3_i32 v8, v8, s12, v1
	v_add_u32_e32 v7, v7, v18
	v_med3_i32 v9, v9, s12, v1
	v_add_u32_e32 v6, v6, v18
	v_or_b32_sdwa v2, v2, v5 dst_sel:DWORD dst_unused:UNUSED_PAD src0_sel:BYTE_0 src1_sel:DWORD
	v_or_b32_sdwa v3, v4, v3 dst_sel:WORD_1 dst_unused:UNUSED_PAD src0_sel:BYTE_0 src1_sel:DWORD
	v_med3_i32 v7, v7, s12, v1
	v_med3_i32 v6, v6, s12, v1
	v_add_u32_e32 v12, v12, v18
	v_add_u32_e32 v13, v17, v18
	v_or_b32_sdwa v5, v2, v3 dst_sel:DWORD dst_unused:UNUSED_PAD src0_sel:WORD_0 src1_sel:DWORD
	v_lshlrev_b16_e32 v2, 8, v9
	v_lshlrev_b16_e32 v3, 8, v8
	v_med3_i32 v12, v12, s12, v1
	v_add_u32_e32 v11, v11, v18
	v_med3_i32 v13, v13, s12, v1
	v_add_u32_e32 v10, v10, v18
	v_or_b32_sdwa v2, v6, v2 dst_sel:DWORD dst_unused:UNUSED_PAD src0_sel:BYTE_0 src1_sel:DWORD
	v_or_b32_sdwa v3, v7, v3 dst_sel:WORD_1 dst_unused:UNUSED_PAD src0_sel:BYTE_0 src1_sel:DWORD
	v_med3_i32 v11, v11, s12, v1
	v_med3_i32 v10, v10, s12, v1
	v_add_u32_e32 v16, v16, v18
	v_add_u32_e32 v17, v19, v18
	v_or_b32_sdwa v4, v2, v3 dst_sel:DWORD dst_unused:UNUSED_PAD src0_sel:WORD_0 src1_sel:DWORD
	v_lshlrev_b16_e32 v2, 8, v13
	v_lshlrev_b16_e32 v3, 8, v12
	v_med3_i32 v16, v16, s12, v1
	v_add_u32_e32 v15, v15, v18
	v_med3_i32 v17, v17, s12, v1
	v_add_u32_e32 v14, v14, v18
	v_or_b32_sdwa v2, v10, v2 dst_sel:DWORD dst_unused:UNUSED_PAD src0_sel:BYTE_0 src1_sel:DWORD
	v_or_b32_sdwa v3, v11, v3 dst_sel:WORD_1 dst_unused:UNUSED_PAD src0_sel:BYTE_0 src1_sel:DWORD
	v_med3_i32 v15, v15, s12, v1
	v_med3_i32 v14, v14, s12, v1
	v_or_b32_sdwa v3, v2, v3 dst_sel:DWORD dst_unused:UNUSED_PAD src0_sel:WORD_0 src1_sel:DWORD
	v_lshlrev_b16_e32 v2, 8, v17
	v_lshlrev_b16_e32 v6, 8, v16
	v_or_b32_sdwa v2, v14, v2 dst_sel:DWORD dst_unused:UNUSED_PAD src0_sel:BYTE_0 src1_sel:DWORD
	v_or_b32_sdwa v6, v15, v6 dst_sel:WORD_1 dst_unused:UNUSED_PAD src0_sel:BYTE_0 src1_sel:DWORD
	v_or_b32_sdwa v2, v2, v6 dst_sel:DWORD dst_unused:UNUSED_PAD src0_sel:WORD_0 src1_sel:DWORD
	global_store_dwordx4 v[24:25], v[2:5], off
	v_add_co_u32_e32 v24, vcc, s7, v24
	v_mov_b32_e32 v2, s6
	v_add_u32_e32 v22, s33, v22
	v_addc_co_u32_e32 v25, vcc, v25, v2, vcc
	v_cmp_le_i32_e32 vcc, s92, v22
	v_mov_b32_e32 v2, s9
	s_or_b64 s[0:1], vcc, s[0:1]
	v_add_co_u32_e32 v26, vcc, s8, v26
	v_addc_co_u32_e32 v27, vcc, v27, v2, vcc
	s_andn2_b64 exec, exec, s[0:1]
	s_cbranch_execz .LBB7_129
.LBB7_66:                               ; =>This Inner Loop Header: Depth=1
	global_load_dwordx4 v[14:17], v[26:27], off
	global_load_dwordx4 v[10:13], v[26:27], off offset:16
	global_load_dwordx4 v[2:5], v[26:27], off offset:48
	;; [unrolled: 1-line block ×3, first 2 shown]
	v_bfrev_b32_e32 v19, -2
	s_waitcnt vmcnt(3)
	v_mul_f32_e32 v14, v20, v14
	v_rndne_f32_e32 v21, v14
	v_cmp_nle_f32_e32 vcc, s10, v21
	v_bfrev_b32_e32 v14, -2
	s_and_saveexec_b64 s[2:3], vcc
	s_cbranch_execz .LBB7_70
; %bb.67:                               ;   in Loop: Header=BB7_66 Depth=1
	v_cmp_nge_f32_e32 vcc, s11, v21
	v_bfrev_b32_e32 v14, 1
	s_and_saveexec_b64 s[4:5], vcc
; %bb.68:                               ;   in Loop: Header=BB7_66 Depth=1
	v_cvt_i32_f32_e32 v14, v21
; %bb.69:                               ;   in Loop: Header=BB7_66 Depth=1
	s_or_b64 exec, exec, s[4:5]
.LBB7_70:                               ;   in Loop: Header=BB7_66 Depth=1
	s_or_b64 exec, exec, s[2:3]
	v_mul_f32_e32 v15, v20, v15
	v_rndne_f32_e32 v15, v15
	v_cmp_nle_f32_e32 vcc, s10, v15
	s_and_saveexec_b64 s[2:3], vcc
	s_cbranch_execz .LBB7_74
; %bb.71:                               ;   in Loop: Header=BB7_66 Depth=1
	v_cmp_nge_f32_e32 vcc, s11, v15
	v_bfrev_b32_e32 v19, 1
	s_and_saveexec_b64 s[4:5], vcc
; %bb.72:                               ;   in Loop: Header=BB7_66 Depth=1
	v_cvt_i32_f32_e32 v19, v15
; %bb.73:                               ;   in Loop: Header=BB7_66 Depth=1
	s_or_b64 exec, exec, s[4:5]
.LBB7_74:                               ;   in Loop: Header=BB7_66 Depth=1
	s_or_b64 exec, exec, s[2:3]
	v_mul_f32_e32 v15, v20, v16
	v_rndne_f32_e32 v21, v15
	v_cmp_nle_f32_e32 vcc, s10, v21
	v_bfrev_b32_e32 v16, -2
	v_bfrev_b32_e32 v15, -2
	s_and_saveexec_b64 s[2:3], vcc
	s_cbranch_execz .LBB7_78
; %bb.75:                               ;   in Loop: Header=BB7_66 Depth=1
	v_cmp_nge_f32_e32 vcc, s11, v21
	v_bfrev_b32_e32 v15, 1
	s_and_saveexec_b64 s[4:5], vcc
; %bb.76:                               ;   in Loop: Header=BB7_66 Depth=1
	v_cvt_i32_f32_e32 v15, v21
; %bb.77:                               ;   in Loop: Header=BB7_66 Depth=1
	s_or_b64 exec, exec, s[4:5]
.LBB7_78:                               ;   in Loop: Header=BB7_66 Depth=1
	s_or_b64 exec, exec, s[2:3]
	v_mul_f32_e32 v17, v20, v17
	v_rndne_f32_e32 v17, v17
	v_cmp_nle_f32_e32 vcc, s10, v17
	s_and_saveexec_b64 s[2:3], vcc
	s_cbranch_execz .LBB7_82
; %bb.79:                               ;   in Loop: Header=BB7_66 Depth=1
	v_cmp_nge_f32_e32 vcc, s11, v17
	v_bfrev_b32_e32 v16, 1
	s_and_saveexec_b64 s[4:5], vcc
; %bb.80:                               ;   in Loop: Header=BB7_66 Depth=1
	v_cvt_i32_f32_e32 v16, v17
; %bb.81:                               ;   in Loop: Header=BB7_66 Depth=1
	s_or_b64 exec, exec, s[4:5]
.LBB7_82:                               ;   in Loop: Header=BB7_66 Depth=1
	s_or_b64 exec, exec, s[2:3]
	s_waitcnt vmcnt(2)
	v_mul_f32_e32 v10, v20, v10
	v_rndne_f32_e32 v21, v10
	v_cmp_nle_f32_e32 vcc, s10, v21
	v_bfrev_b32_e32 v17, -2
	v_bfrev_b32_e32 v10, -2
	s_and_saveexec_b64 s[2:3], vcc
	s_cbranch_execz .LBB7_86
; %bb.83:                               ;   in Loop: Header=BB7_66 Depth=1
	v_cmp_nge_f32_e32 vcc, s11, v21
	v_bfrev_b32_e32 v10, 1
	s_and_saveexec_b64 s[4:5], vcc
; %bb.84:                               ;   in Loop: Header=BB7_66 Depth=1
	v_cvt_i32_f32_e32 v10, v21
; %bb.85:                               ;   in Loop: Header=BB7_66 Depth=1
	s_or_b64 exec, exec, s[4:5]
.LBB7_86:                               ;   in Loop: Header=BB7_66 Depth=1
	s_or_b64 exec, exec, s[2:3]
	v_mul_f32_e32 v11, v20, v11
	v_rndne_f32_e32 v11, v11
	v_cmp_nle_f32_e32 vcc, s10, v11
	s_and_saveexec_b64 s[2:3], vcc
	s_cbranch_execz .LBB7_90
; %bb.87:                               ;   in Loop: Header=BB7_66 Depth=1
	v_cmp_nge_f32_e32 vcc, s11, v11
	v_bfrev_b32_e32 v17, 1
	s_and_saveexec_b64 s[4:5], vcc
; %bb.88:                               ;   in Loop: Header=BB7_66 Depth=1
	v_cvt_i32_f32_e32 v17, v11
; %bb.89:                               ;   in Loop: Header=BB7_66 Depth=1
	s_or_b64 exec, exec, s[4:5]
.LBB7_90:                               ;   in Loop: Header=BB7_66 Depth=1
	s_or_b64 exec, exec, s[2:3]
	v_mul_f32_e32 v11, v20, v12
	v_rndne_f32_e32 v21, v11
	v_cmp_nle_f32_e32 vcc, s10, v21
	v_bfrev_b32_e32 v12, -2
	v_bfrev_b32_e32 v11, -2
	s_and_saveexec_b64 s[2:3], vcc
	s_cbranch_execz .LBB7_94
; %bb.91:                               ;   in Loop: Header=BB7_66 Depth=1
	v_cmp_nge_f32_e32 vcc, s11, v21
	v_bfrev_b32_e32 v11, 1
	s_and_saveexec_b64 s[4:5], vcc
; %bb.92:                               ;   in Loop: Header=BB7_66 Depth=1
	v_cvt_i32_f32_e32 v11, v21
; %bb.93:                               ;   in Loop: Header=BB7_66 Depth=1
	s_or_b64 exec, exec, s[4:5]
.LBB7_94:                               ;   in Loop: Header=BB7_66 Depth=1
	s_or_b64 exec, exec, s[2:3]
	v_mul_f32_e32 v13, v20, v13
	v_rndne_f32_e32 v13, v13
	v_cmp_nle_f32_e32 vcc, s10, v13
	s_and_saveexec_b64 s[2:3], vcc
	s_cbranch_execz .LBB7_98
; %bb.95:                               ;   in Loop: Header=BB7_66 Depth=1
	v_cmp_nge_f32_e32 vcc, s11, v13
	v_bfrev_b32_e32 v12, 1
	s_and_saveexec_b64 s[4:5], vcc
; %bb.96:                               ;   in Loop: Header=BB7_66 Depth=1
	v_cvt_i32_f32_e32 v12, v13
; %bb.97:                               ;   in Loop: Header=BB7_66 Depth=1
	s_or_b64 exec, exec, s[4:5]
.LBB7_98:                               ;   in Loop: Header=BB7_66 Depth=1
	s_or_b64 exec, exec, s[2:3]
	s_waitcnt vmcnt(0)
	v_mul_f32_e32 v6, v20, v6
	v_rndne_f32_e32 v21, v6
	v_cmp_nle_f32_e32 vcc, s10, v21
	v_bfrev_b32_e32 v13, -2
	v_bfrev_b32_e32 v6, -2
	s_and_saveexec_b64 s[2:3], vcc
	s_cbranch_execz .LBB7_102
; %bb.99:                               ;   in Loop: Header=BB7_66 Depth=1
	v_cmp_nge_f32_e32 vcc, s11, v21
	v_bfrev_b32_e32 v6, 1
	s_and_saveexec_b64 s[4:5], vcc
; %bb.100:                              ;   in Loop: Header=BB7_66 Depth=1
	v_cvt_i32_f32_e32 v6, v21
; %bb.101:                              ;   in Loop: Header=BB7_66 Depth=1
	s_or_b64 exec, exec, s[4:5]
.LBB7_102:                              ;   in Loop: Header=BB7_66 Depth=1
	s_or_b64 exec, exec, s[2:3]
	v_mul_f32_e32 v7, v20, v7
	v_rndne_f32_e32 v7, v7
	v_cmp_nle_f32_e32 vcc, s10, v7
	s_and_saveexec_b64 s[2:3], vcc
	s_cbranch_execz .LBB7_106
; %bb.103:                              ;   in Loop: Header=BB7_66 Depth=1
	v_cmp_nge_f32_e32 vcc, s11, v7
	v_bfrev_b32_e32 v13, 1
	s_and_saveexec_b64 s[4:5], vcc
; %bb.104:                              ;   in Loop: Header=BB7_66 Depth=1
	v_cvt_i32_f32_e32 v13, v7
; %bb.105:                              ;   in Loop: Header=BB7_66 Depth=1
	s_or_b64 exec, exec, s[4:5]
.LBB7_106:                              ;   in Loop: Header=BB7_66 Depth=1
	s_or_b64 exec, exec, s[2:3]
	v_mul_f32_e32 v7, v20, v8
	v_rndne_f32_e32 v21, v7
	v_cmp_nle_f32_e32 vcc, s10, v21
	v_bfrev_b32_e32 v8, -2
	v_bfrev_b32_e32 v7, -2
	s_and_saveexec_b64 s[2:3], vcc
	s_cbranch_execz .LBB7_110
; %bb.107:                              ;   in Loop: Header=BB7_66 Depth=1
	v_cmp_nge_f32_e32 vcc, s11, v21
	v_bfrev_b32_e32 v7, 1
	s_and_saveexec_b64 s[4:5], vcc
; %bb.108:                              ;   in Loop: Header=BB7_66 Depth=1
	v_cvt_i32_f32_e32 v7, v21
; %bb.109:                              ;   in Loop: Header=BB7_66 Depth=1
	s_or_b64 exec, exec, s[4:5]
.LBB7_110:                              ;   in Loop: Header=BB7_66 Depth=1
	s_or_b64 exec, exec, s[2:3]
	v_mul_f32_e32 v9, v20, v9
	v_rndne_f32_e32 v9, v9
	v_cmp_nle_f32_e32 vcc, s10, v9
	s_and_saveexec_b64 s[2:3], vcc
	s_cbranch_execz .LBB7_114
; %bb.111:                              ;   in Loop: Header=BB7_66 Depth=1
	v_cmp_nge_f32_e32 vcc, s11, v9
	v_bfrev_b32_e32 v8, 1
	s_and_saveexec_b64 s[4:5], vcc
; %bb.112:                              ;   in Loop: Header=BB7_66 Depth=1
	v_cvt_i32_f32_e32 v8, v9
; %bb.113:                              ;   in Loop: Header=BB7_66 Depth=1
	s_or_b64 exec, exec, s[4:5]
.LBB7_114:                              ;   in Loop: Header=BB7_66 Depth=1
	s_or_b64 exec, exec, s[2:3]
	v_mul_f32_e32 v2, v20, v2
	v_rndne_f32_e32 v21, v2
	v_cmp_nle_f32_e32 vcc, s10, v21
	v_bfrev_b32_e32 v9, -2
	v_bfrev_b32_e32 v2, -2
	s_and_saveexec_b64 s[2:3], vcc
	s_cbranch_execz .LBB7_118
; %bb.115:                              ;   in Loop: Header=BB7_66 Depth=1
	v_cmp_nge_f32_e32 vcc, s11, v21
	v_bfrev_b32_e32 v2, 1
	s_and_saveexec_b64 s[4:5], vcc
; %bb.116:                              ;   in Loop: Header=BB7_66 Depth=1
	v_cvt_i32_f32_e32 v2, v21
; %bb.117:                              ;   in Loop: Header=BB7_66 Depth=1
	s_or_b64 exec, exec, s[4:5]
.LBB7_118:                              ;   in Loop: Header=BB7_66 Depth=1
	;; [unrolled: 32-line block ×3, first 2 shown]
	s_or_b64 exec, exec, s[2:3]
	v_mul_f32_e32 v5, v20, v5
	v_rndne_f32_e32 v5, v5
	v_cmp_nle_f32_e32 vcc, s10, v5
	s_and_saveexec_b64 s[2:3], vcc
	s_cbranch_execz .LBB7_65
; %bb.127:                              ;   in Loop: Header=BB7_66 Depth=1
	v_cmp_nge_f32_e32 vcc, s11, v5
	v_bfrev_b32_e32 v3, 1
	s_and_saveexec_b64 s[4:5], vcc
	s_cbranch_execz .LBB7_64
; %bb.128:                              ;   in Loop: Header=BB7_66 Depth=1
	v_cvt_i32_f32_e32 v3, v5
	s_branch .LBB7_64
.LBB7_129:
	s_or_b64 exec, exec, s[78:79]
	v_lshl_add_u32 v2, s92, 4, v0
	v_cmp_gt_i32_e32 vcc, s87, v2
	s_and_saveexec_b64 s[2:3], vcc
	s_cbranch_execz .LBB7_141
; %bb.130:
	v_cvt_f32_u32_e32 v1, s33
	v_add_u32_e32 v3, s33, v2
	v_mov_b32_e32 v4, s33
	s_sub_i32 s4, 0, s33
	v_rcp_iflag_f32_e32 v1, v1
	v_cmp_gt_i32_e32 vcc, s87, v3
	v_max_i32_e32 v5, s87, v3
	v_addc_co_u32_e64 v3, s[0:1], v2, v4, vcc
	v_mul_f32_e32 v1, 0x4f7ffffe, v1
	v_cvt_u32_f32_e32 v1, v1
	v_sub_u32_e32 v3, v5, v3
	s_cmp_eq_u32 s33, 1
	v_mul_lo_u32 v4, s4, v1
	v_mul_hi_u32 v4, v1, v4
	v_add_u32_e32 v1, v1, v4
	v_mul_hi_u32 v1, v3, v1
	v_mul_lo_u32 v4, v1, s33
	v_sub_u32_e32 v3, v3, v4
	v_add_u32_e32 v5, 1, v1
	v_cmp_le_u32_e64 s[0:1], s33, v3
	v_subrev_u32_e32 v4, s33, v3
	v_cndmask_b32_e64 v1, v1, v5, s[0:1]
	v_cndmask_b32_e64 v3, v3, v4, s[0:1]
	v_add_u32_e32 v4, 1, v1
	v_cmp_le_u32_e64 s[0:1], s33, v3
	v_cndmask_b32_e64 v1, v1, v4, s[0:1]
	v_addc_co_u32_e32 v3, vcc, 1, v1, vcc
	v_cmp_lt_u32_e32 vcc, 1, v3
	s_cselect_b64 s[0:1], -1, 0
	s_and_b64 s[6:7], vcc, s[0:1]
	s_mov_b64 s[4:5], -1
	s_and_saveexec_b64 s[0:1], s[6:7]
	s_cbranch_execz .LBB7_134
; %bb.131:
	v_and_b32_e32 v6, -2, v3
	v_mov_b32_e32 v21, v20
	v_mov_b32_e32 v1, v18
	s_mov_b64 s[4:5], 0
	v_mov_b32_e32 v7, s91
	v_mov_b32_e32 v8, s90
	s_mov_b32 s6, 0x4f000000
	s_mov_b32 s7, 0xcf000000
	v_mov_b32_e32 v9, 0xcf000000
	v_bfrev_b32_e32 v10, -2
	s_movk_i32 s8, 0xff80
	v_mov_b32_e32 v11, 0x7f
	v_mov_b32_e32 v4, v2
	;; [unrolled: 1-line block ×3, first 2 shown]
.LBB7_132:                              ; =>This Inner Loop Header: Depth=1
	v_ashrrev_i32_e32 v5, 31, v4
	v_lshlrev_b64 v[14:15], 2, v[4:5]
	v_add_co_u32_e32 v14, vcc, s88, v14
	v_addc_co_u32_e32 v15, vcc, v8, v15, vcc
	global_load_dwordx2 v[14:15], v[14:15], off
	v_add_co_u32_e32 v16, vcc, s89, v4
	v_add_u32_e32 v12, -2, v12
	v_addc_co_u32_e32 v17, vcc, v7, v5, vcc
	v_cmp_eq_u32_e32 vcc, 0, v12
	s_or_b64 s[4:5], vcc, s[4:5]
	v_add_u32_e32 v4, 2, v4
	s_waitcnt vmcnt(0)
	v_pk_mul_f32 v[14:15], v[20:21], v[14:15]
	v_rndne_f32_e32 v5, v14
	v_rndne_f32_e32 v13, v15
	v_cmp_nge_f32_e32 vcc, s7, v5
	v_cndmask_b32_e32 v14, v9, v5, vcc
	v_cmp_nge_f32_e32 vcc, s7, v13
	v_cvt_i32_f32_e32 v14, v14
	v_cndmask_b32_e32 v15, v9, v13, vcc
	v_cvt_i32_f32_e32 v15, v15
	v_cmp_nle_f32_e32 vcc, s6, v5
	v_cndmask_b32_e32 v5, v10, v14, vcc
	v_cmp_nle_f32_e32 vcc, s6, v13
	v_cndmask_b32_e32 v13, v10, v15, vcc
	v_add_u32_e32 v13, v13, v1
	v_add_u32_e32 v5, v5, v18
	v_med3_i32 v13, v13, s8, v11
	v_med3_i32 v5, v5, s8, v11
	v_lshlrev_b16_e32 v13, 8, v13
	v_or_b32_sdwa v5, v5, v13 dst_sel:DWORD dst_unused:UNUSED_PAD src0_sel:BYTE_0 src1_sel:DWORD
	global_store_short v[16:17], v5, off
	s_andn2_b64 exec, exec, s[4:5]
	s_cbranch_execnz .LBB7_132
; %bb.133:
	s_or_b64 exec, exec, s[4:5]
	v_cmp_ne_u32_e32 vcc, v3, v6
	v_add_u32_e32 v2, v2, v6
	s_orn2_b64 s[4:5], vcc, exec
.LBB7_134:
	s_or_b64 exec, exec, s[0:1]
	s_and_b64 exec, exec, s[4:5]
	s_cbranch_execz .LBB7_141
; %bb.135:
	s_add_u32 s0, s66, s76
	s_addc_u32 s1, s67, s77
	v_ashrrev_i32_e32 v3, 31, v2
	s_add_u32 s0, s64, s0
	v_lshlrev_b64 v[4:5], 2, v[2:3]
	s_addc_u32 s1, s65, s1
	s_lshl_b32 s10, s33, 2
	v_add_co_u32_e32 v4, vcc, s0, v4
	s_add_u32 s0, s74, s68
	v_mov_b32_e32 v1, s1
	s_addc_u32 s1, s75, s69
	s_add_u32 s0, s70, s0
	v_addc_co_u32_e32 v5, vcc, v1, v5, vcc
	s_addc_u32 s1, s71, s1
	s_mov_b32 s4, 0
	v_mov_b32_e32 v6, s1
	v_add_co_u32_e32 v1, vcc, s0, v2
	v_addc_co_u32_e32 v3, vcc, v6, v3, vcc
	s_mov_b64 s[0:1], 0
	s_mov_b32 s11, 0x4f000000
	s_mov_b32 s12, 0xcf000000
	s_movk_i32 s13, 0xff80
	v_mov_b32_e32 v6, 0x7f
	v_mov_b32_e32 v7, s4
	s_mov_b64 s[4:5], 0
	s_branch .LBB7_138
.LBB7_136:                              ;   in Loop: Header=BB7_138 Depth=1
	s_or_b64 exec, exec, s[8:9]
.LBB7_137:                              ;   in Loop: Header=BB7_138 Depth=1
	s_or_b64 exec, exec, s[6:7]
	v_mov_b32_e32 v9, s5
	v_add_co_u32_e32 v10, vcc, s4, v1
	v_add_u32_e32 v8, v8, v18
	v_addc_co_u32_e32 v11, vcc, v3, v9, vcc
	v_med3_i32 v8, v8, s13, v6
	s_add_u32 s4, s4, s33
	global_store_byte v[10:11], v8, off
	v_add_u32_e32 v8, s4, v2
	s_addc_u32 s5, s5, 0
	v_cmp_le_i32_e32 vcc, s87, v8
	s_or_b64 s[0:1], vcc, s[0:1]
	v_add_co_u32_e32 v4, vcc, s10, v4
	v_addc_co_u32_e32 v5, vcc, v5, v7, vcc
	s_andn2_b64 exec, exec, s[0:1]
	s_cbranch_execz .LBB7_141
.LBB7_138:                              ; =>This Inner Loop Header: Depth=1
	global_load_dword v8, v[4:5], off
	s_waitcnt vmcnt(0)
	v_mul_f32_e32 v8, v20, v8
	v_rndne_f32_e32 v9, v8
	v_cmp_nle_f32_e32 vcc, s11, v9
	v_bfrev_b32_e32 v8, -2
	s_and_saveexec_b64 s[6:7], vcc
	s_cbranch_execz .LBB7_137
; %bb.139:                              ;   in Loop: Header=BB7_138 Depth=1
	v_cmp_nge_f32_e32 vcc, s12, v9
	v_bfrev_b32_e32 v8, 1
	s_and_saveexec_b64 s[8:9], vcc
	s_cbranch_execz .LBB7_136
; %bb.140:                              ;   in Loop: Header=BB7_138 Depth=1
	v_cvt_i32_f32_e32 v8, v9
	s_branch .LBB7_136
.LBB7_141:
	s_or_b64 exec, exec, s[2:3]
	s_mov_b64 s[2:3], 0
.LBB7_142:
	s_and_b64 vcc, exec, s[2:3]
	s_cbranch_vccz .LBB7_215
; %bb.143:
	s_ashr_i32 s78, s86, 4
	v_cmp_gt_i32_e32 vcc, s78, v0
	s_and_saveexec_b64 s[0:1], vcc
	s_cbranch_execz .LBB7_215
; %bb.144:
	v_cvt_f32_u32_e32 v1, s33
	v_add_u32_e32 v2, s33, v0
	v_mov_b32_e32 v3, s33
	s_sub_i32 s2, 0, s33
	v_rcp_iflag_f32_e32 v1, v1
	v_cmp_gt_i32_e32 vcc, s78, v2
	v_max_i32_e32 v4, s78, v2
	v_addc_co_u32_e64 v2, s[0:1], v0, v3, vcc
	v_mul_f32_e32 v1, 0x4f7ffffe, v1
	v_cvt_u32_f32_e32 v1, v1
	v_sub_u32_e32 v2, v4, v2
	s_cmp_eq_u32 s33, 1
	v_mul_lo_u32 v3, s2, v1
	v_mul_hi_u32 v3, v1, v3
	v_add_u32_e32 v1, v1, v3
	v_mul_hi_u32 v1, v2, v1
	v_mul_lo_u32 v3, v1, s33
	v_sub_u32_e32 v2, v2, v3
	v_add_u32_e32 v4, 1, v1
	v_cmp_le_u32_e64 s[0:1], s33, v2
	v_subrev_u32_e32 v3, s33, v2
	v_cndmask_b32_e64 v1, v1, v4, s[0:1]
	v_cndmask_b32_e64 v2, v2, v3, s[0:1]
	v_add_u32_e32 v3, 1, v1
	v_cmp_le_u32_e64 s[0:1], s33, v2
	v_cndmask_b32_e64 v1, v1, v3, s[0:1]
	v_addc_co_u32_e32 v2, vcc, 1, v1, vcc
	v_cmp_lt_u32_e32 vcc, 1, v2
	s_cselect_b64 s[0:1], -1, 0
	s_and_b64 s[2:3], vcc, s[0:1]
	s_mov_b64 s[0:1], -1
	s_and_saveexec_b64 s[74:75], s[2:3]
	s_cbranch_execz .LBB7_148
; %bb.145:
	v_and_b32_e32 v12, -2, v2
	v_add_u32_e32 v1, 1, v0
	v_mov_b32_e32 v21, v20
	v_mov_b32_e32 v3, v18
	s_mov_b64 s[76:77], 0
	v_mov_b32_e32 v13, s85
	s_mov_b32 s79, 0x4f000000
	s_mov_b32 s80, 0xcf000000
	v_mov_b32_e32 v14, 0xcf000000
	v_bfrev_b32_e32 v15, -2
	s_movk_i32 s81, 0xff80
	v_mov_b32_e32 v16, 0x7f
	v_mov_b32_e32 v17, s73
	;; [unrolled: 1-line block ×4, first 2 shown]
	v_pk_mov_b32 v[6:7], v[0:1], v[0:1] op_sel:[0,1]
.LBB7_146:                              ; =>This Inner Loop Header: Depth=1
	v_mov_b32_e32 v4, v6
	v_lshlrev_b64 v[10:11], 6, v[4:5]
	v_mov_b32_e32 v8, v7
	v_mov_b32_e32 v9, v5
	v_add_co_u32_e64 v54, s[0:1], s84, v10
	v_lshlrev_b64 v[22:23], 6, v[8:9]
	v_addc_co_u32_e64 v55, s[0:1], v13, v11, s[0:1]
	v_add_co_u32_e64 v56, s[0:1], s84, v22
	v_lshlrev_b64 v[24:25], 4, v[4:5]
	v_addc_co_u32_e64 v57, s[0:1], v13, v23, s[0:1]
	v_add_co_u32_e64 v10, s[0:1], s72, v24
	v_addc_co_u32_e64 v11, s[0:1], v17, v25, s[0:1]
	global_load_dwordx4 v[22:25], v[54:55], off
	global_load_dwordx4 v[26:29], v[56:57], off
	global_load_dwordx4 v[30:33], v[54:55], off offset:16
	global_load_dwordx4 v[34:37], v[56:57], off offset:16
	;; [unrolled: 1-line block ×6, first 2 shown]
	v_add_u32_e32 v19, -2, v19
	v_cmp_eq_u32_e32 vcc, 0, v19
	s_or_b64 s[76:77], vcc, s[76:77]
	v_lshlrev_b64 v[8:9], 4, v[8:9]
	v_add_co_u32_e64 v8, s[0:1], s72, v8
	v_addc_co_u32_e64 v9, s[0:1], v17, v9, s[0:1]
	v_add_u32_e32 v7, 2, v7
	v_add_u32_e32 v6, 2, v6
	s_waitcnt vmcnt(7)
	v_mov_b32_e32 v54, v22
	s_waitcnt vmcnt(6)
	v_mov_b32_e32 v55, v26
	v_mov_b32_e32 v26, v23
	v_mov_b32_e32 v22, v24
	v_mov_b32_e32 v23, v28
	v_mov_b32_e32 v28, v25
	s_waitcnt vmcnt(5)
	v_mov_b32_e32 v24, v30
	s_waitcnt vmcnt(4)
	v_mov_b32_e32 v25, v34
	v_mov_b32_e32 v34, v31
	v_mov_b32_e32 v30, v32
	v_mov_b32_e32 v31, v36
	v_mov_b32_e32 v36, v33
	;; [unrolled: 8-line block ×4, first 2 shown]
	v_pk_mul_f32 v[48:49], v[20:21], v[54:55]
	v_rndne_f32_e32 v1, v48
	v_pk_mul_f32 v[26:27], v[20:21], v[26:27]
	v_pk_mul_f32 v[50:51], v[20:21], v[50:51]
	;; [unrolled: 1-line block ×3, first 2 shown]
	v_rndne_f32_e32 v4, v49
	v_cmp_nge_f32_e32 vcc, s80, v1
	v_rndne_f32_e32 v26, v26
	v_rndne_f32_e32 v48, v50
	;; [unrolled: 1-line block ×3, first 2 shown]
	v_cndmask_b32_e32 v52, v14, v1, vcc
	v_cmp_nge_f32_e32 vcc, s80, v4
	v_pk_mul_f32 v[22:23], v[20:21], v[22:23]
	v_rndne_f32_e32 v27, v27
	v_rndne_f32_e32 v49, v51
	;; [unrolled: 1-line block ×3, first 2 shown]
	v_cndmask_b32_e32 v53, v14, v4, vcc
	v_cmp_nge_f32_e32 vcc, s80, v26
	v_rndne_f32_e32 v22, v22
	v_cndmask_b32_e32 v54, v14, v26, vcc
	v_cmp_nge_f32_e32 vcc, s80, v27
	v_pk_mul_f32 v[28:29], v[20:21], v[28:29]
	v_rndne_f32_e32 v23, v23
	v_cndmask_b32_e32 v55, v14, v27, vcc
	v_cmp_nge_f32_e32 vcc, s80, v22
	v_pk_mul_f32 v[24:25], v[20:21], v[24:25]
	v_pk_mul_f32 v[34:35], v[20:21], v[34:35]
	;; [unrolled: 1-line block ×3, first 2 shown]
	v_rndne_f32_e32 v28, v28
	v_cndmask_b32_e32 v56, v14, v22, vcc
	v_cmp_nge_f32_e32 vcc, s80, v23
	v_pk_mul_f32 v[36:37], v[20:21], v[36:37]
	v_rndne_f32_e32 v29, v29
	v_rndne_f32_e32 v24, v24
	v_rndne_f32_e32 v25, v25
	v_rndne_f32_e32 v34, v34
	v_rndne_f32_e32 v35, v35
	v_rndne_f32_e32 v30, v30
	v_rndne_f32_e32 v31, v31
	v_cndmask_b32_e32 v57, v14, v23, vcc
	v_cmp_nge_f32_e32 vcc, s80, v28
	v_rndne_f32_e32 v36, v36
	v_cndmask_b32_e32 v58, v14, v28, vcc
	v_cmp_nge_f32_e32 vcc, s80, v29
	v_cmp_nge_f32_e64 s[0:1], s80, v24
	v_cmp_nge_f32_e64 s[2:3], s80, v25
	;; [unrolled: 1-line block ×6, first 2 shown]
	v_pk_mul_f32 v[32:33], v[20:21], v[32:33]
	v_rndne_f32_e32 v37, v37
	v_cndmask_b32_e32 v59, v14, v29, vcc
	v_cmp_nle_f32_e32 vcc, s79, v4
	v_cndmask_b32_e64 v4, v14, v24, s[0:1]
	v_cmp_nle_f32_e64 s[0:1], s79, v27
	v_cndmask_b32_e64 v27, v14, v25, s[2:3]
	v_cmp_nle_f32_e64 s[2:3], s79, v26
	;; [unrolled: 2-line block ×5, first 2 shown]
	v_cndmask_b32_e64 v29, v14, v31, s[10:11]
	v_cmp_nge_f32_e64 s[10:11], s80, v36
	v_rndne_f32_e32 v32, v32
	v_cmp_nle_f32_e64 s[12:13], s79, v28
	v_cndmask_b32_e64 v28, v14, v36, s[10:11]
	v_cmp_nge_f32_e64 s[10:11], s80, v37
	v_pk_mul_f32 v[42:43], v[20:21], v[42:43]
	v_rndne_f32_e32 v33, v33
	v_cmp_nle_f32_e64 s[14:15], s79, v25
	v_cndmask_b32_e64 v25, v14, v37, s[10:11]
	v_cmp_nge_f32_e64 s[10:11], s80, v32
	v_rndne_f32_e32 v42, v42
	v_cmp_nle_f32_e64 s[16:17], s79, v24
	v_cndmask_b32_e64 v24, v14, v32, s[10:11]
	v_cmp_nge_f32_e64 s[10:11], s80, v33
	v_pk_mul_f32 v[38:39], v[20:21], v[38:39]
	v_rndne_f32_e32 v43, v43
	v_cmp_nle_f32_e64 s[18:19], s79, v35
	;; [unrolled: 9-line block ×4, first 2 shown]
	v_cndmask_b32_e64 v37, v14, v39, s[10:11]
	v_cmp_nge_f32_e64 s[10:11], s80, v44
	v_rndne_f32_e32 v40, v40
	v_cmp_nle_f32_e64 s[28:29], s79, v36
	v_cndmask_b32_e64 v36, v14, v44, s[10:11]
	v_cmp_nge_f32_e64 s[10:11], s80, v45
	v_rndne_f32_e32 v41, v41
	v_cmp_nle_f32_e64 s[30:31], s79, v33
	v_cndmask_b32_e64 v33, v14, v45, s[10:11]
	v_cmp_nge_f32_e64 s[10:11], s80, v40
	v_cmp_nle_f32_e64 s[34:35], s79, v32
	v_cndmask_b32_e64 v32, v14, v40, s[10:11]
	v_cmp_nge_f32_e64 s[10:11], s80, v41
	v_pk_mul_f32 v[46:47], v[20:21], v[46:47]
	v_cmp_nle_f32_e64 s[36:37], s79, v43
	v_cndmask_b32_e64 v43, v14, v41, s[10:11]
	v_cmp_nge_f32_e64 s[10:11], s80, v48
	v_rndne_f32_e32 v46, v46
	v_cmp_nle_f32_e64 s[38:39], s79, v42
	v_cndmask_b32_e64 v42, v14, v48, s[10:11]
	v_cmp_nge_f32_e64 s[10:11], s80, v49
	v_rndne_f32_e32 v47, v47
	v_cmp_nle_f32_e64 s[40:41], s79, v39
	v_cndmask_b32_e64 v39, v14, v49, s[10:11]
	v_cmp_nge_f32_e64 s[10:11], s80, v46
	v_cmp_nle_f32_e64 s[42:43], s79, v38
	v_cndmask_b32_e64 v38, v14, v46, s[10:11]
	v_cmp_nge_f32_e64 s[10:11], s80, v47
	;; [unrolled: 3-line block ×4, first 2 shown]
	v_cmp_nle_f32_e64 s[48:49], s79, v41
	v_cndmask_b32_e64 v41, v14, v51, s[10:11]
	v_cvt_i32_f32_e32 v55, v55
	v_cvt_i32_f32_e32 v59, v59
	;; [unrolled: 1-line block ×19, first 2 shown]
	v_cmp_nle_f32_e64 s[10:11], s79, v40
	v_cvt_i32_f32_e32 v40, v42
	v_cvt_i32_f32_e32 v42, v45
	;; [unrolled: 1-line block ×13, first 2 shown]
	v_cmp_nle_f32_e64 s[50:51], s79, v49
	v_cmp_nle_f32_e64 s[58:59], s79, v51
	;; [unrolled: 1-line block ×4, first 2 shown]
	v_cndmask_b32_e64 v47, v15, v55, s[0:1]
	v_cndmask_b32_e64 v51, v15, v59, s[8:9]
	;; [unrolled: 1-line block ×8, first 2 shown]
	v_cmp_nle_f32_e64 s[52:53], s79, v48
	v_cmp_nle_f32_e64 s[56:57], s79, v46
	;; [unrolled: 1-line block ×3, first 2 shown]
	v_cndmask_b32_e64 v1, v15, v52, s[62:63]
	v_cndmask_b32_e32 v45, v15, v53, vcc
	v_cndmask_b32_e64 v49, v15, v57, s[4:5]
	v_cndmask_b32_e64 v4, v15, v4, s[16:17]
	;; [unrolled: 1-line block ×10, first 2 shown]
	v_add_u32_e32 v47, v47, v3
	v_add_u32_e32 v51, v51, v3
	;; [unrolled: 1-line block ×8, first 2 shown]
	v_cndmask_b32_e64 v46, v15, v54, s[2:3]
	v_cndmask_b32_e64 v48, v15, v56, s[6:7]
	;; [unrolled: 1-line block ×12, first 2 shown]
	v_add_u32_e32 v45, v45, v3
	v_add_u32_e32 v1, v1, v18
	;; [unrolled: 1-line block ×12, first 2 shown]
	v_med3_i32 v47, v47, s81, v16
	v_med3_i32 v51, v51, s81, v16
	;; [unrolled: 1-line block ×8, first 2 shown]
	v_add_u32_e32 v46, v46, v18
	v_add_u32_e32 v48, v48, v18
	;; [unrolled: 1-line block ×12, first 2 shown]
	v_med3_i32 v1, v1, s81, v16
	v_med3_i32 v45, v45, s81, v16
	;; [unrolled: 1-line block ×12, first 2 shown]
	v_lshlrev_b16_e32 v47, 8, v47
	v_lshlrev_b16_e32 v51, 8, v51
	;; [unrolled: 1-line block ×8, first 2 shown]
	v_med3_i32 v46, v46, s81, v16
	v_med3_i32 v48, v48, s81, v16
	;; [unrolled: 1-line block ×12, first 2 shown]
	global_store_byte v[10:11], v1, off
	global_store_byte v[10:11], v46, off offset:1
	global_store_byte v[10:11], v48, off offset:2
	;; [unrolled: 1-line block ×15, first 2 shown]
	v_or_b32_sdwa v1, v45, v47 dst_sel:DWORD dst_unused:UNUSED_PAD src0_sel:BYTE_0 src1_sel:DWORD
	v_or_b32_sdwa v4, v49, v51 dst_sel:WORD_1 dst_unused:UNUSED_PAD src0_sel:BYTE_0 src1_sel:DWORD
	v_or_b32_sdwa v10, v27, v23 dst_sel:DWORD dst_unused:UNUSED_PAD src0_sel:BYTE_0 src1_sel:DWORD
	v_or_b32_sdwa v11, v29, v25 dst_sel:WORD_1 dst_unused:UNUSED_PAD src0_sel:BYTE_0 src1_sel:DWORD
	;; [unrolled: 2-line block ×4, first 2 shown]
	v_or_b32_sdwa v25, v24, v25 dst_sel:DWORD dst_unused:UNUSED_PAD src0_sel:WORD_0 src1_sel:DWORD
	v_or_b32_sdwa v24, v22, v23 dst_sel:DWORD dst_unused:UNUSED_PAD src0_sel:WORD_0 src1_sel:DWORD
	;; [unrolled: 1-line block ×4, first 2 shown]
	global_store_dwordx4 v[8:9], v[22:25], off
	s_andn2_b64 exec, exec, s[76:77]
	s_cbranch_execnz .LBB7_146
; %bb.147:
	s_or_b64 exec, exec, s[76:77]
	v_cmp_ne_u32_e32 vcc, v2, v12
	v_add_u32_e32 v0, v0, v12
	s_orn2_b64 s[0:1], vcc, exec
.LBB7_148:
	s_or_b64 exec, exec, s[74:75]
	s_and_b64 exec, exec, s[0:1]
	s_cbranch_execz .LBB7_215
; %bb.149:
	v_mov_b32_e32 v1, 0
	s_add_u32 s0, s70, s68
	v_lshlrev_b64 v[2:3], 4, v[0:1]
	s_addc_u32 s1, s71, s69
	s_lshl_b32 s7, s33, 4
	v_mov_b32_e32 v4, s1
	v_add_co_u32_e32 v22, vcc, s0, v2
	s_add_u32 s0, s64, s66
	v_addc_co_u32_e32 v23, vcc, v4, v3, vcc
	v_lshlrev_b64 v[2:3], 6, v[0:1]
	s_addc_u32 s1, s65, s67
	s_mov_b32 s6, 0
	v_mov_b32_e32 v1, s1
	v_add_co_u32_e32 v24, vcc, s0, v2
	v_addc_co_u32_e32 v25, vcc, v1, v3, vcc
	s_lshl_b32 s8, s33, 6
	s_mov_b32 s9, s6
	s_mov_b64 s[0:1], 0
	s_mov_b32 s10, 0x4f000000
	s_mov_b32 s11, 0xcf000000
	s_movk_i32 s12, 0xff80
	v_mov_b32_e32 v1, 0x7f
	s_branch .LBB7_152
.LBB7_150:                              ;   in Loop: Header=BB7_152 Depth=1
	s_or_b64 exec, exec, s[4:5]
.LBB7_151:                              ;   in Loop: Header=BB7_152 Depth=1
	s_or_b64 exec, exec, s[2:3]
	v_add_u32_e32 v5, v9, v18
	v_add_u32_e32 v3, v3, v18
	;; [unrolled: 1-line block ×3, first 2 shown]
	v_med3_i32 v5, v5, s12, v1
	v_add_u32_e32 v2, v2, v18
	v_med3_i32 v3, v3, s12, v1
	v_med3_i32 v4, v4, s12, v1
	;; [unrolled: 1-line block ×3, first 2 shown]
	v_add_u32_e32 v8, v8, v18
	v_add_u32_e32 v9, v13, v18
	v_lshlrev_b16_e32 v5, 8, v5
	v_lshlrev_b16_e32 v3, 8, v3
	v_med3_i32 v8, v8, s12, v1
	v_add_u32_e32 v7, v7, v18
	v_med3_i32 v9, v9, s12, v1
	v_add_u32_e32 v6, v6, v18
	v_or_b32_sdwa v2, v2, v5 dst_sel:DWORD dst_unused:UNUSED_PAD src0_sel:BYTE_0 src1_sel:DWORD
	v_or_b32_sdwa v3, v4, v3 dst_sel:WORD_1 dst_unused:UNUSED_PAD src0_sel:BYTE_0 src1_sel:DWORD
	v_med3_i32 v7, v7, s12, v1
	v_med3_i32 v6, v6, s12, v1
	v_add_u32_e32 v12, v12, v18
	v_add_u32_e32 v13, v17, v18
	v_or_b32_sdwa v5, v2, v3 dst_sel:DWORD dst_unused:UNUSED_PAD src0_sel:WORD_0 src1_sel:DWORD
	v_lshlrev_b16_e32 v2, 8, v9
	v_lshlrev_b16_e32 v3, 8, v8
	v_med3_i32 v12, v12, s12, v1
	v_add_u32_e32 v11, v11, v18
	v_med3_i32 v13, v13, s12, v1
	v_add_u32_e32 v10, v10, v18
	v_or_b32_sdwa v2, v6, v2 dst_sel:DWORD dst_unused:UNUSED_PAD src0_sel:BYTE_0 src1_sel:DWORD
	v_or_b32_sdwa v3, v7, v3 dst_sel:WORD_1 dst_unused:UNUSED_PAD src0_sel:BYTE_0 src1_sel:DWORD
	v_med3_i32 v11, v11, s12, v1
	v_med3_i32 v10, v10, s12, v1
	v_add_u32_e32 v16, v16, v18
	v_add_u32_e32 v17, v19, v18
	v_or_b32_sdwa v4, v2, v3 dst_sel:DWORD dst_unused:UNUSED_PAD src0_sel:WORD_0 src1_sel:DWORD
	v_lshlrev_b16_e32 v2, 8, v13
	v_lshlrev_b16_e32 v3, 8, v12
	v_med3_i32 v16, v16, s12, v1
	v_add_u32_e32 v15, v15, v18
	v_med3_i32 v17, v17, s12, v1
	v_add_u32_e32 v14, v14, v18
	v_or_b32_sdwa v2, v10, v2 dst_sel:DWORD dst_unused:UNUSED_PAD src0_sel:BYTE_0 src1_sel:DWORD
	v_or_b32_sdwa v3, v11, v3 dst_sel:WORD_1 dst_unused:UNUSED_PAD src0_sel:BYTE_0 src1_sel:DWORD
	v_med3_i32 v15, v15, s12, v1
	v_med3_i32 v14, v14, s12, v1
	v_or_b32_sdwa v3, v2, v3 dst_sel:DWORD dst_unused:UNUSED_PAD src0_sel:WORD_0 src1_sel:DWORD
	v_lshlrev_b16_e32 v2, 8, v17
	v_lshlrev_b16_e32 v6, 8, v16
	v_or_b32_sdwa v2, v14, v2 dst_sel:DWORD dst_unused:UNUSED_PAD src0_sel:BYTE_0 src1_sel:DWORD
	v_or_b32_sdwa v6, v15, v6 dst_sel:WORD_1 dst_unused:UNUSED_PAD src0_sel:BYTE_0 src1_sel:DWORD
	v_or_b32_sdwa v2, v2, v6 dst_sel:DWORD dst_unused:UNUSED_PAD src0_sel:WORD_0 src1_sel:DWORD
	global_store_dwordx4 v[22:23], v[2:5], off
	v_add_co_u32_e32 v22, vcc, s7, v22
	v_mov_b32_e32 v2, s6
	v_add_u32_e32 v0, s33, v0
	v_addc_co_u32_e32 v23, vcc, v23, v2, vcc
	v_cmp_le_i32_e32 vcc, s78, v0
	v_mov_b32_e32 v2, s9
	s_or_b64 s[0:1], vcc, s[0:1]
	v_add_co_u32_e32 v24, vcc, s8, v24
	v_addc_co_u32_e32 v25, vcc, v25, v2, vcc
	s_andn2_b64 exec, exec, s[0:1]
	s_cbranch_execz .LBB7_215
.LBB7_152:                              ; =>This Inner Loop Header: Depth=1
	global_load_dwordx4 v[14:17], v[24:25], off
	global_load_dwordx4 v[10:13], v[24:25], off offset:16
	global_load_dwordx4 v[2:5], v[24:25], off offset:48
	;; [unrolled: 1-line block ×3, first 2 shown]
	v_bfrev_b32_e32 v19, -2
	s_waitcnt vmcnt(3)
	v_mul_f32_e32 v14, v20, v14
	v_rndne_f32_e32 v21, v14
	v_cmp_nle_f32_e32 vcc, s10, v21
	v_bfrev_b32_e32 v14, -2
	s_and_saveexec_b64 s[2:3], vcc
	s_cbranch_execz .LBB7_156
; %bb.153:                              ;   in Loop: Header=BB7_152 Depth=1
	v_cmp_nge_f32_e32 vcc, s11, v21
	v_bfrev_b32_e32 v14, 1
	s_and_saveexec_b64 s[4:5], vcc
; %bb.154:                              ;   in Loop: Header=BB7_152 Depth=1
	v_cvt_i32_f32_e32 v14, v21
; %bb.155:                              ;   in Loop: Header=BB7_152 Depth=1
	s_or_b64 exec, exec, s[4:5]
.LBB7_156:                              ;   in Loop: Header=BB7_152 Depth=1
	s_or_b64 exec, exec, s[2:3]
	v_mul_f32_e32 v15, v20, v15
	v_rndne_f32_e32 v15, v15
	v_cmp_nle_f32_e32 vcc, s10, v15
	s_and_saveexec_b64 s[2:3], vcc
	s_cbranch_execz .LBB7_160
; %bb.157:                              ;   in Loop: Header=BB7_152 Depth=1
	v_cmp_nge_f32_e32 vcc, s11, v15
	v_bfrev_b32_e32 v19, 1
	s_and_saveexec_b64 s[4:5], vcc
; %bb.158:                              ;   in Loop: Header=BB7_152 Depth=1
	v_cvt_i32_f32_e32 v19, v15
; %bb.159:                              ;   in Loop: Header=BB7_152 Depth=1
	s_or_b64 exec, exec, s[4:5]
.LBB7_160:                              ;   in Loop: Header=BB7_152 Depth=1
	s_or_b64 exec, exec, s[2:3]
	v_mul_f32_e32 v15, v20, v16
	v_rndne_f32_e32 v21, v15
	v_cmp_nle_f32_e32 vcc, s10, v21
	v_bfrev_b32_e32 v16, -2
	v_bfrev_b32_e32 v15, -2
	s_and_saveexec_b64 s[2:3], vcc
	s_cbranch_execz .LBB7_164
; %bb.161:                              ;   in Loop: Header=BB7_152 Depth=1
	v_cmp_nge_f32_e32 vcc, s11, v21
	v_bfrev_b32_e32 v15, 1
	s_and_saveexec_b64 s[4:5], vcc
; %bb.162:                              ;   in Loop: Header=BB7_152 Depth=1
	v_cvt_i32_f32_e32 v15, v21
; %bb.163:                              ;   in Loop: Header=BB7_152 Depth=1
	s_or_b64 exec, exec, s[4:5]
.LBB7_164:                              ;   in Loop: Header=BB7_152 Depth=1
	s_or_b64 exec, exec, s[2:3]
	v_mul_f32_e32 v17, v20, v17
	v_rndne_f32_e32 v17, v17
	v_cmp_nle_f32_e32 vcc, s10, v17
	s_and_saveexec_b64 s[2:3], vcc
	s_cbranch_execz .LBB7_168
; %bb.165:                              ;   in Loop: Header=BB7_152 Depth=1
	v_cmp_nge_f32_e32 vcc, s11, v17
	v_bfrev_b32_e32 v16, 1
	s_and_saveexec_b64 s[4:5], vcc
; %bb.166:                              ;   in Loop: Header=BB7_152 Depth=1
	v_cvt_i32_f32_e32 v16, v17
; %bb.167:                              ;   in Loop: Header=BB7_152 Depth=1
	s_or_b64 exec, exec, s[4:5]
.LBB7_168:                              ;   in Loop: Header=BB7_152 Depth=1
	s_or_b64 exec, exec, s[2:3]
	s_waitcnt vmcnt(2)
	v_mul_f32_e32 v10, v20, v10
	v_rndne_f32_e32 v21, v10
	v_cmp_nle_f32_e32 vcc, s10, v21
	v_bfrev_b32_e32 v17, -2
	v_bfrev_b32_e32 v10, -2
	s_and_saveexec_b64 s[2:3], vcc
	s_cbranch_execz .LBB7_172
; %bb.169:                              ;   in Loop: Header=BB7_152 Depth=1
	v_cmp_nge_f32_e32 vcc, s11, v21
	v_bfrev_b32_e32 v10, 1
	s_and_saveexec_b64 s[4:5], vcc
; %bb.170:                              ;   in Loop: Header=BB7_152 Depth=1
	v_cvt_i32_f32_e32 v10, v21
; %bb.171:                              ;   in Loop: Header=BB7_152 Depth=1
	s_or_b64 exec, exec, s[4:5]
.LBB7_172:                              ;   in Loop: Header=BB7_152 Depth=1
	s_or_b64 exec, exec, s[2:3]
	v_mul_f32_e32 v11, v20, v11
	v_rndne_f32_e32 v11, v11
	v_cmp_nle_f32_e32 vcc, s10, v11
	s_and_saveexec_b64 s[2:3], vcc
	s_cbranch_execz .LBB7_176
; %bb.173:                              ;   in Loop: Header=BB7_152 Depth=1
	v_cmp_nge_f32_e32 vcc, s11, v11
	v_bfrev_b32_e32 v17, 1
	s_and_saveexec_b64 s[4:5], vcc
; %bb.174:                              ;   in Loop: Header=BB7_152 Depth=1
	v_cvt_i32_f32_e32 v17, v11
; %bb.175:                              ;   in Loop: Header=BB7_152 Depth=1
	s_or_b64 exec, exec, s[4:5]
.LBB7_176:                              ;   in Loop: Header=BB7_152 Depth=1
	s_or_b64 exec, exec, s[2:3]
	v_mul_f32_e32 v11, v20, v12
	v_rndne_f32_e32 v21, v11
	v_cmp_nle_f32_e32 vcc, s10, v21
	v_bfrev_b32_e32 v12, -2
	v_bfrev_b32_e32 v11, -2
	s_and_saveexec_b64 s[2:3], vcc
	s_cbranch_execz .LBB7_180
; %bb.177:                              ;   in Loop: Header=BB7_152 Depth=1
	v_cmp_nge_f32_e32 vcc, s11, v21
	v_bfrev_b32_e32 v11, 1
	s_and_saveexec_b64 s[4:5], vcc
; %bb.178:                              ;   in Loop: Header=BB7_152 Depth=1
	v_cvt_i32_f32_e32 v11, v21
; %bb.179:                              ;   in Loop: Header=BB7_152 Depth=1
	s_or_b64 exec, exec, s[4:5]
.LBB7_180:                              ;   in Loop: Header=BB7_152 Depth=1
	s_or_b64 exec, exec, s[2:3]
	v_mul_f32_e32 v13, v20, v13
	v_rndne_f32_e32 v13, v13
	v_cmp_nle_f32_e32 vcc, s10, v13
	s_and_saveexec_b64 s[2:3], vcc
	s_cbranch_execz .LBB7_184
; %bb.181:                              ;   in Loop: Header=BB7_152 Depth=1
	v_cmp_nge_f32_e32 vcc, s11, v13
	v_bfrev_b32_e32 v12, 1
	s_and_saveexec_b64 s[4:5], vcc
; %bb.182:                              ;   in Loop: Header=BB7_152 Depth=1
	v_cvt_i32_f32_e32 v12, v13
; %bb.183:                              ;   in Loop: Header=BB7_152 Depth=1
	s_or_b64 exec, exec, s[4:5]
.LBB7_184:                              ;   in Loop: Header=BB7_152 Depth=1
	s_or_b64 exec, exec, s[2:3]
	s_waitcnt vmcnt(0)
	v_mul_f32_e32 v6, v20, v6
	v_rndne_f32_e32 v21, v6
	v_cmp_nle_f32_e32 vcc, s10, v21
	v_bfrev_b32_e32 v13, -2
	v_bfrev_b32_e32 v6, -2
	s_and_saveexec_b64 s[2:3], vcc
	s_cbranch_execz .LBB7_188
; %bb.185:                              ;   in Loop: Header=BB7_152 Depth=1
	v_cmp_nge_f32_e32 vcc, s11, v21
	v_bfrev_b32_e32 v6, 1
	s_and_saveexec_b64 s[4:5], vcc
; %bb.186:                              ;   in Loop: Header=BB7_152 Depth=1
	v_cvt_i32_f32_e32 v6, v21
; %bb.187:                              ;   in Loop: Header=BB7_152 Depth=1
	s_or_b64 exec, exec, s[4:5]
.LBB7_188:                              ;   in Loop: Header=BB7_152 Depth=1
	s_or_b64 exec, exec, s[2:3]
	v_mul_f32_e32 v7, v20, v7
	v_rndne_f32_e32 v7, v7
	v_cmp_nle_f32_e32 vcc, s10, v7
	s_and_saveexec_b64 s[2:3], vcc
	s_cbranch_execz .LBB7_192
; %bb.189:                              ;   in Loop: Header=BB7_152 Depth=1
	v_cmp_nge_f32_e32 vcc, s11, v7
	v_bfrev_b32_e32 v13, 1
	s_and_saveexec_b64 s[4:5], vcc
; %bb.190:                              ;   in Loop: Header=BB7_152 Depth=1
	v_cvt_i32_f32_e32 v13, v7
; %bb.191:                              ;   in Loop: Header=BB7_152 Depth=1
	s_or_b64 exec, exec, s[4:5]
.LBB7_192:                              ;   in Loop: Header=BB7_152 Depth=1
	s_or_b64 exec, exec, s[2:3]
	v_mul_f32_e32 v7, v20, v8
	v_rndne_f32_e32 v21, v7
	v_cmp_nle_f32_e32 vcc, s10, v21
	v_bfrev_b32_e32 v8, -2
	v_bfrev_b32_e32 v7, -2
	s_and_saveexec_b64 s[2:3], vcc
	s_cbranch_execz .LBB7_196
; %bb.193:                              ;   in Loop: Header=BB7_152 Depth=1
	v_cmp_nge_f32_e32 vcc, s11, v21
	v_bfrev_b32_e32 v7, 1
	s_and_saveexec_b64 s[4:5], vcc
; %bb.194:                              ;   in Loop: Header=BB7_152 Depth=1
	v_cvt_i32_f32_e32 v7, v21
; %bb.195:                              ;   in Loop: Header=BB7_152 Depth=1
	s_or_b64 exec, exec, s[4:5]
.LBB7_196:                              ;   in Loop: Header=BB7_152 Depth=1
	s_or_b64 exec, exec, s[2:3]
	v_mul_f32_e32 v9, v20, v9
	v_rndne_f32_e32 v9, v9
	v_cmp_nle_f32_e32 vcc, s10, v9
	s_and_saveexec_b64 s[2:3], vcc
	s_cbranch_execz .LBB7_200
; %bb.197:                              ;   in Loop: Header=BB7_152 Depth=1
	v_cmp_nge_f32_e32 vcc, s11, v9
	v_bfrev_b32_e32 v8, 1
	s_and_saveexec_b64 s[4:5], vcc
; %bb.198:                              ;   in Loop: Header=BB7_152 Depth=1
	v_cvt_i32_f32_e32 v8, v9
; %bb.199:                              ;   in Loop: Header=BB7_152 Depth=1
	s_or_b64 exec, exec, s[4:5]
.LBB7_200:                              ;   in Loop: Header=BB7_152 Depth=1
	s_or_b64 exec, exec, s[2:3]
	v_mul_f32_e32 v2, v20, v2
	v_rndne_f32_e32 v21, v2
	v_cmp_nle_f32_e32 vcc, s10, v21
	v_bfrev_b32_e32 v9, -2
	v_bfrev_b32_e32 v2, -2
	s_and_saveexec_b64 s[2:3], vcc
	s_cbranch_execz .LBB7_204
; %bb.201:                              ;   in Loop: Header=BB7_152 Depth=1
	v_cmp_nge_f32_e32 vcc, s11, v21
	v_bfrev_b32_e32 v2, 1
	s_and_saveexec_b64 s[4:5], vcc
; %bb.202:                              ;   in Loop: Header=BB7_152 Depth=1
	v_cvt_i32_f32_e32 v2, v21
; %bb.203:                              ;   in Loop: Header=BB7_152 Depth=1
	s_or_b64 exec, exec, s[4:5]
.LBB7_204:                              ;   in Loop: Header=BB7_152 Depth=1
	s_or_b64 exec, exec, s[2:3]
	v_mul_f32_e32 v3, v20, v3
	v_rndne_f32_e32 v3, v3
	v_cmp_nle_f32_e32 vcc, s10, v3
	s_and_saveexec_b64 s[2:3], vcc
	s_cbranch_execz .LBB7_208
; %bb.205:                              ;   in Loop: Header=BB7_152 Depth=1
	v_cmp_nge_f32_e32 vcc, s11, v3
	v_bfrev_b32_e32 v9, 1
	s_and_saveexec_b64 s[4:5], vcc
; %bb.206:                              ;   in Loop: Header=BB7_152 Depth=1
	v_cvt_i32_f32_e32 v9, v3
; %bb.207:                              ;   in Loop: Header=BB7_152 Depth=1
	s_or_b64 exec, exec, s[4:5]
.LBB7_208:                              ;   in Loop: Header=BB7_152 Depth=1
	s_or_b64 exec, exec, s[2:3]
	v_mul_f32_e32 v3, v20, v4
	v_rndne_f32_e32 v21, v3
	v_cmp_nle_f32_e32 vcc, s10, v21
	v_bfrev_b32_e32 v3, -2
	v_bfrev_b32_e32 v4, -2
	s_and_saveexec_b64 s[2:3], vcc
	s_cbranch_execz .LBB7_212
; %bb.209:                              ;   in Loop: Header=BB7_152 Depth=1
	v_cmp_nge_f32_e32 vcc, s11, v21
	v_bfrev_b32_e32 v4, 1
	s_and_saveexec_b64 s[4:5], vcc
; %bb.210:                              ;   in Loop: Header=BB7_152 Depth=1
	v_cvt_i32_f32_e32 v4, v21
; %bb.211:                              ;   in Loop: Header=BB7_152 Depth=1
	s_or_b64 exec, exec, s[4:5]
.LBB7_212:                              ;   in Loop: Header=BB7_152 Depth=1
	s_or_b64 exec, exec, s[2:3]
	v_mul_f32_e32 v5, v20, v5
	v_rndne_f32_e32 v5, v5
	v_cmp_nle_f32_e32 vcc, s10, v5
	s_and_saveexec_b64 s[2:3], vcc
	s_cbranch_execz .LBB7_151
; %bb.213:                              ;   in Loop: Header=BB7_152 Depth=1
	v_cmp_nge_f32_e32 vcc, s11, v5
	v_bfrev_b32_e32 v3, 1
	s_and_saveexec_b64 s[4:5], vcc
	s_cbranch_execz .LBB7_150
; %bb.214:                              ;   in Loop: Header=BB7_152 Depth=1
	v_cvt_i32_f32_e32 v3, v5
	s_branch .LBB7_150
.LBB7_215:
	s_endpgm
	.section	.rodata,"a",@progbits
	.p2align	6, 0x0
	.amdhsa_kernel _ZN4vllm36dynamic_scaled_int8_azp_quant_kernelIffiEEvPKT_PaPT0_PT1_i
		.amdhsa_group_segment_fixed_size 40
		.amdhsa_private_segment_fixed_size 0
		.amdhsa_kernarg_size 296
		.amdhsa_user_sgpr_count 6
		.amdhsa_user_sgpr_private_segment_buffer 1
		.amdhsa_user_sgpr_dispatch_ptr 0
		.amdhsa_user_sgpr_queue_ptr 0
		.amdhsa_user_sgpr_kernarg_segment_ptr 1
		.amdhsa_user_sgpr_dispatch_id 0
		.amdhsa_user_sgpr_flat_scratch_init 0
		.amdhsa_user_sgpr_kernarg_preload_length 0
		.amdhsa_user_sgpr_kernarg_preload_offset 0
		.amdhsa_user_sgpr_private_segment_size 0
		.amdhsa_uses_dynamic_stack 0
		.amdhsa_system_sgpr_private_segment_wavefront_offset 0
		.amdhsa_system_sgpr_workgroup_id_x 1
		.amdhsa_system_sgpr_workgroup_id_y 0
		.amdhsa_system_sgpr_workgroup_id_z 0
		.amdhsa_system_sgpr_workgroup_info 0
		.amdhsa_system_vgpr_workitem_id 0
		.amdhsa_next_free_vgpr 60
		.amdhsa_next_free_sgpr 96
		.amdhsa_accum_offset 60
		.amdhsa_reserve_vcc 1
		.amdhsa_reserve_flat_scratch 0
		.amdhsa_float_round_mode_32 0
		.amdhsa_float_round_mode_16_64 0
		.amdhsa_float_denorm_mode_32 3
		.amdhsa_float_denorm_mode_16_64 3
		.amdhsa_dx10_clamp 1
		.amdhsa_ieee_mode 1
		.amdhsa_fp16_overflow 0
		.amdhsa_tg_split 0
		.amdhsa_exception_fp_ieee_invalid_op 0
		.amdhsa_exception_fp_denorm_src 0
		.amdhsa_exception_fp_ieee_div_zero 0
		.amdhsa_exception_fp_ieee_overflow 0
		.amdhsa_exception_fp_ieee_underflow 0
		.amdhsa_exception_fp_ieee_inexact 0
		.amdhsa_exception_int_div_zero 0
	.end_amdhsa_kernel
	.section	.text._ZN4vllm36dynamic_scaled_int8_azp_quant_kernelIffiEEvPKT_PaPT0_PT1_i,"axG",@progbits,_ZN4vllm36dynamic_scaled_int8_azp_quant_kernelIffiEEvPKT_PaPT0_PT1_i,comdat
.Lfunc_end7:
	.size	_ZN4vllm36dynamic_scaled_int8_azp_quant_kernelIffiEEvPKT_PaPT0_PT1_i, .Lfunc_end7-_ZN4vllm36dynamic_scaled_int8_azp_quant_kernelIffiEEvPKT_PaPT0_PT1_i
                                        ; -- End function
	.section	.AMDGPU.csdata,"",@progbits
; Kernel info:
; codeLenInByte = 11640
; NumSgprs: 100
; NumVgprs: 60
; NumAgprs: 0
; TotalNumVgprs: 60
; ScratchSize: 0
; MemoryBound: 1
; FloatMode: 240
; IeeeMode: 1
; LDSByteSize: 40 bytes/workgroup (compile time only)
; SGPRBlocks: 12
; VGPRBlocks: 7
; NumSGPRsForWavesPerEU: 100
; NumVGPRsForWavesPerEU: 60
; AccumOffset: 60
; Occupancy: 8
; WaveLimiterHint : 0
; COMPUTE_PGM_RSRC2:SCRATCH_EN: 0
; COMPUTE_PGM_RSRC2:USER_SGPR: 6
; COMPUTE_PGM_RSRC2:TRAP_HANDLER: 0
; COMPUTE_PGM_RSRC2:TGID_X_EN: 1
; COMPUTE_PGM_RSRC2:TGID_Y_EN: 0
; COMPUTE_PGM_RSRC2:TGID_Z_EN: 0
; COMPUTE_PGM_RSRC2:TIDIG_COMP_CNT: 0
; COMPUTE_PGM_RSRC3_GFX90A:ACCUM_OFFSET: 14
; COMPUTE_PGM_RSRC3_GFX90A:TG_SPLIT: 0
	.section	.text._ZN4vllm32dynamic_scaled_int8_quant_kernelIN3c104HalfEfEEvPKT_PaPT0_i,"axG",@progbits,_ZN4vllm32dynamic_scaled_int8_quant_kernelIN3c104HalfEfEEvPKT_PaPT0_i,comdat
	.protected	_ZN4vllm32dynamic_scaled_int8_quant_kernelIN3c104HalfEfEEvPKT_PaPT0_i ; -- Begin function _ZN4vllm32dynamic_scaled_int8_quant_kernelIN3c104HalfEfEEvPKT_PaPT0_i
	.globl	_ZN4vllm32dynamic_scaled_int8_quant_kernelIN3c104HalfEfEEvPKT_PaPT0_i
	.p2align	8
	.type	_ZN4vllm32dynamic_scaled_int8_quant_kernelIN3c104HalfEfEEvPKT_PaPT0_i,@function
_ZN4vllm32dynamic_scaled_int8_quant_kernelIN3c104HalfEfEEvPKT_PaPT0_i: ; @_ZN4vllm32dynamic_scaled_int8_quant_kernelIN3c104HalfEfEEvPKT_PaPT0_i
; %bb.0:
	s_load_dword s48, s[4:5], 0x18
	s_load_dword s0, s[4:5], 0x2c
	s_load_dwordx2 s[30:31], s[4:5], 0x0
	s_mov_b32 s15, 0
	s_waitcnt lgkmcnt(0)
	s_ashr_i32 s1, s48, 31
	s_and_b32 s33, s0, 0xffff
	s_mul_hi_u32 s0, s48, s6
	s_mul_i32 s1, s1, s6
	s_add_i32 s37, s0, s1
	s_mul_i32 s36, s48, s6
	s_lshl_b64 s[34:35], s[36:37], 1
	s_add_u32 s49, s30, s34
	s_addc_u32 s50, s31, s35
	s_and_b32 s14, s49, 31
	s_cmp_lg_u64 s[14:15], 0
	s_cselect_b64 s[0:1], -1, 0
	s_and_b32 s2, s48, 15
	s_cmp_lg_u32 s2, 0
	s_cselect_b64 s[2:3], -1, 0
	s_or_b64 s[12:13], s[2:3], s[0:1]
	s_and_b64 vcc, exec, s[12:13]
	s_cbranch_vccz .LBB8_14
; %bb.1:
	s_sub_i32 s0, 0, s49
	s_bfe_u32 s0, s0, 0x40001
	s_min_i32 s0, s0, s48
	v_cmp_gt_i32_e32 vcc, s0, v0
	v_mov_b32_e32 v1, 0
	s_and_saveexec_b64 s[2:3], vcc
	s_cbranch_execz .LBB8_5
; %bb.2:
	s_add_u32 s1, s30, s34
	v_lshlrev_b32_e32 v1, 1, v0
	s_addc_u32 s8, s31, s35
	s_mov_b32 s7, 0
	v_mov_b32_e32 v3, s8
	v_add_co_u32_e32 v2, vcc, s1, v1
	v_addc_co_u32_e32 v3, vcc, 0, v3, vcc
	s_lshl_b32 s1, s33, 1
	s_mov_b64 s[8:9], 0
	v_mov_b32_e32 v1, 0
	v_mov_b32_e32 v4, s7
	v_mov_b32_e32 v5, v0
.LBB8_3:                                ; =>This Inner Loop Header: Depth=1
	global_load_ushort v6, v[2:3], off
	v_add_co_u32_e32 v2, vcc, s1, v2
	v_add_u32_e32 v5, s33, v5
	v_addc_co_u32_e32 v3, vcc, v3, v4, vcc
	v_max_f32_e32 v1, v1, v1
	v_cmp_le_i32_e32 vcc, s0, v5
	s_or_b64 s[8:9], vcc, s[8:9]
	s_waitcnt vmcnt(0)
	v_cvt_f32_f16_e64 v6, |v6|
	v_max_f32_e32 v1, v1, v6
	s_andn2_b64 exec, exec, s[8:9]
	s_cbranch_execnz .LBB8_3
; %bb.4:
	s_or_b64 exec, exec, s[8:9]
.LBB8_5:
	s_or_b64 exec, exec, s[2:3]
	s_sub_i32 s7, s48, s0
	s_ashr_i32 s2, s7, 31
	s_lshr_b32 s2, s2, 28
	s_add_i32 s2, s7, s2
	s_ashr_i32 s10, s2, 4
	s_ashr_i32 s1, s0, 31
	v_cmp_gt_i32_e32 vcc, s10, v0
	s_and_saveexec_b64 s[2:3], vcc
	s_cbranch_execz .LBB8_9
; %bb.6:
	s_lshl_b64 s[8:9], s[0:1], 1
	s_add_u32 s8, s30, s8
	s_addc_u32 s9, s31, s9
	s_add_u32 s8, s8, s34
	v_lshlrev_b32_e32 v2, 5, v0
	s_addc_u32 s9, s9, s35
	s_mov_b32 s14, 0
	v_mov_b32_e32 v3, s9
	v_add_co_u32_e32 v2, vcc, s8, v2
	v_addc_co_u32_e32 v3, vcc, 0, v3, vcc
	s_lshl_b32 s11, s33, 5
	s_mov_b64 s[8:9], 0
	v_mov_b32_e32 v4, s14
	v_mov_b32_e32 v5, v0
.LBB8_7:                                ; =>This Inner Loop Header: Depth=1
	global_load_dwordx4 v[6:9], v[2:3], off
	global_load_dwordx4 v[10:13], v[2:3], off offset:16
	v_add_co_u32_e32 v2, vcc, s11, v2
	v_add_u32_e32 v5, s33, v5
	v_addc_co_u32_e32 v3, vcc, v3, v4, vcc
	v_cmp_le_i32_e32 vcc, s10, v5
	s_or_b64 s[8:9], vcc, s[8:9]
	s_waitcnt vmcnt(1)
	v_cvt_f32_f16_e64 v14, |v6|
	v_cvt_f32_f16_sdwa v6, |v6| dst_sel:DWORD dst_unused:UNUSED_PAD src0_sel:WORD_1
	v_cvt_f32_f16_e64 v15, |v7|
	v_cvt_f32_f16_sdwa v7, |v7| dst_sel:DWORD dst_unused:UNUSED_PAD src0_sel:WORD_1
	;; [unrolled: 2-line block ×4, first 2 shown]
	s_waitcnt vmcnt(0)
	v_cvt_f32_f16_e64 v18, |v10|
	v_cvt_f32_f16_sdwa v10, |v10| dst_sel:DWORD dst_unused:UNUSED_PAD src0_sel:WORD_1
	v_max3_f32 v1, v1, v14, v6
	v_cvt_f32_f16_e64 v19, |v11|
	v_cvt_f32_f16_sdwa v11, |v11| dst_sel:DWORD dst_unused:UNUSED_PAD src0_sel:WORD_1
	v_max3_f32 v1, v1, v15, v7
	;; [unrolled: 3-line block ×4, first 2 shown]
	v_max3_f32 v1, v1, v18, v10
	v_max3_f32 v1, v1, v19, v11
	;; [unrolled: 1-line block ×4, first 2 shown]
	s_andn2_b64 exec, exec, s[8:9]
	s_cbranch_execnz .LBB8_7
; %bb.8:
	s_or_b64 exec, exec, s[8:9]
.LBB8_9:
	s_or_b64 exec, exec, s[2:3]
	v_lshl_add_u32 v2, s10, 4, v0
	v_cmp_gt_i32_e32 vcc, s7, v2
	s_and_saveexec_b64 s[2:3], vcc
	s_cbranch_execz .LBB8_13
; %bb.10:
	s_lshl_b64 s[0:1], s[0:1], 1
	s_add_u32 s0, s34, s0
	s_addc_u32 s1, s35, s1
	v_ashrrev_i32_e32 v3, 31, v2
	s_add_u32 s0, s30, s0
	v_lshlrev_b64 v[4:5], 1, v[2:3]
	s_addc_u32 s1, s31, s1
	v_mov_b32_e32 v3, s1
	v_add_co_u32_e32 v4, vcc, s0, v4
	s_mov_b32 s9, 0
	v_addc_co_u32_e32 v5, vcc, v3, v5, vcc
	s_lshl_b32 s8, s33, 1
	s_mov_b64 s[0:1], 0
	v_mov_b32_e32 v3, s9
.LBB8_11:                               ; =>This Inner Loop Header: Depth=1
	global_load_ushort v6, v[4:5], off
	v_add_co_u32_e32 v4, vcc, s8, v4
	v_add_u32_e32 v2, s33, v2
	v_addc_co_u32_e32 v5, vcc, v5, v3, vcc
	v_max_f32_e32 v1, v1, v1
	v_cmp_le_i32_e32 vcc, s7, v2
	s_or_b64 s[0:1], vcc, s[0:1]
	s_waitcnt vmcnt(0)
	v_cvt_f32_f16_e64 v6, |v6|
	v_max_f32_e32 v1, v1, v6
	s_andn2_b64 exec, exec, s[0:1]
	s_cbranch_execnz .LBB8_11
; %bb.12:
	s_or_b64 exec, exec, s[0:1]
.LBB8_13:
	s_or_b64 exec, exec, s[2:3]
	s_branch .LBB8_20
.LBB8_14:
                                        ; implicit-def: $vgpr1
	s_cbranch_execz .LBB8_20
; %bb.15:
	s_ashr_i32 s7, s48, 4
	v_cmp_gt_i32_e32 vcc, s7, v0
	v_mov_b32_e32 v1, 0
	s_and_saveexec_b64 s[0:1], vcc
	s_cbranch_execz .LBB8_19
; %bb.16:
	s_add_u32 s2, s30, s34
	v_lshlrev_b32_e32 v1, 5, v0
	s_addc_u32 s3, s31, s35
	s_mov_b32 s9, 0
	v_mov_b32_e32 v3, s3
	v_add_co_u32_e32 v2, vcc, s2, v1
	v_addc_co_u32_e32 v3, vcc, 0, v3, vcc
	s_lshl_b32 s8, s33, 5
	s_mov_b64 s[2:3], 0
	v_mov_b32_e32 v1, 0
	v_mov_b32_e32 v4, s9
	;; [unrolled: 1-line block ×3, first 2 shown]
.LBB8_17:                               ; =>This Inner Loop Header: Depth=1
	global_load_dwordx4 v[6:9], v[2:3], off
	global_load_dwordx4 v[10:13], v[2:3], off offset:16
	v_add_co_u32_e32 v2, vcc, s8, v2
	v_add_u32_e32 v5, s33, v5
	v_addc_co_u32_e32 v3, vcc, v3, v4, vcc
	v_cmp_le_i32_e32 vcc, s7, v5
	s_or_b64 s[2:3], vcc, s[2:3]
	s_waitcnt vmcnt(1)
	v_cvt_f32_f16_e64 v14, |v6|
	v_cvt_f32_f16_sdwa v6, |v6| dst_sel:DWORD dst_unused:UNUSED_PAD src0_sel:WORD_1
	v_cvt_f32_f16_e64 v15, |v7|
	v_cvt_f32_f16_sdwa v7, |v7| dst_sel:DWORD dst_unused:UNUSED_PAD src0_sel:WORD_1
	;; [unrolled: 2-line block ×4, first 2 shown]
	s_waitcnt vmcnt(0)
	v_cvt_f32_f16_e64 v18, |v10|
	v_cvt_f32_f16_sdwa v10, |v10| dst_sel:DWORD dst_unused:UNUSED_PAD src0_sel:WORD_1
	v_max3_f32 v1, v1, v14, v6
	v_cvt_f32_f16_e64 v19, |v11|
	v_cvt_f32_f16_sdwa v11, |v11| dst_sel:DWORD dst_unused:UNUSED_PAD src0_sel:WORD_1
	v_max3_f32 v1, v1, v15, v7
	;; [unrolled: 3-line block ×4, first 2 shown]
	v_max3_f32 v1, v1, v18, v10
	v_max3_f32 v1, v1, v19, v11
	;; [unrolled: 1-line block ×4, first 2 shown]
	s_andn2_b64 exec, exec, s[2:3]
	s_cbranch_execnz .LBB8_17
; %bb.18:
	s_or_b64 exec, exec, s[2:3]
.LBB8_19:
	s_or_b64 exec, exec, s[0:1]
.LBB8_20:
	v_mbcnt_lo_u32_b32 v2, -1, 0
	v_mbcnt_hi_u32_b32 v2, -1, v2
	v_and_b32_e32 v3, 63, v2
	v_cmp_ne_u32_e32 vcc, 63, v3
	v_addc_co_u32_e32 v4, vcc, 0, v2, vcc
	v_lshlrev_b32_e32 v4, 2, v4
	ds_bpermute_b32 v4, v4, v1
	v_and_b32_e32 v5, 0x3c0, v0
	v_sub_u32_e64 v5, s33, v5 clamp
	v_add_u32_e32 v6, 1, v2
	v_cmp_gt_u32_e64 s[0:1], 62, v3
	s_waitcnt lgkmcnt(0)
	v_cmp_lt_f32_e32 vcc, v1, v4
	v_cndmask_b32_e32 v4, v1, v4, vcc
	v_cmp_lt_u32_e32 vcc, v6, v5
	v_cndmask_b32_e64 v6, 0, 1, s[0:1]
	v_lshlrev_b32_e32 v6, 1, v6
	v_cndmask_b32_e32 v4, v1, v4, vcc
	v_add_lshl_u32 v6, v6, v2, 2
	ds_bpermute_b32 v6, v6, v4
	v_add_u32_e32 v7, 2, v2
	v_cmp_gt_u32_e64 s[2:3], 60, v3
	v_cmp_gt_u32_e64 s[8:9], 56, v3
	;; [unrolled: 1-line block ×3, first 2 shown]
	s_waitcnt lgkmcnt(0)
	v_cmp_lt_f32_e64 s[0:1], v4, v6
	v_cndmask_b32_e64 v6, v4, v6, s[0:1]
	v_cmp_lt_u32_e64 s[0:1], v7, v5
	v_cndmask_b32_e64 v4, v4, v6, s[0:1]
	v_cndmask_b32_e64 v6, 0, 1, s[2:3]
	v_lshlrev_b32_e32 v6, 2, v6
	v_add_lshl_u32 v6, v6, v2, 2
	ds_bpermute_b32 v6, v6, v4
	v_add_u32_e32 v7, 4, v2
	s_or_b64 s[0:1], vcc, s[0:1]
	s_waitcnt lgkmcnt(0)
	v_cmp_lt_f32_e64 s[2:3], v4, v6
	v_cndmask_b32_e64 v6, v4, v6, s[2:3]
	v_cmp_lt_u32_e64 s[2:3], v7, v5
	v_cndmask_b32_e64 v4, v4, v6, s[2:3]
	v_cndmask_b32_e64 v6, 0, 1, s[8:9]
	v_lshlrev_b32_e32 v6, 3, v6
	v_add_lshl_u32 v6, v6, v2, 2
	ds_bpermute_b32 v6, v6, v4
	v_add_u32_e32 v7, 8, v2
	s_or_b64 s[2:3], s[2:3], s[0:1]
	v_cmp_gt_u32_e64 s[0:1], 32, v3
	v_cndmask_b32_e64 v3, 0, 1, s[0:1]
	s_waitcnt lgkmcnt(0)
	v_cmp_lt_f32_e64 s[8:9], v4, v6
	v_cndmask_b32_e64 v6, v4, v6, s[8:9]
	v_cmp_lt_u32_e64 s[8:9], v7, v5
	v_cndmask_b32_e64 v4, v4, v6, s[8:9]
	v_cndmask_b32_e64 v6, 0, 1, s[10:11]
	v_lshlrev_b32_e32 v6, 4, v6
	v_add_lshl_u32 v6, v6, v2, 2
	ds_bpermute_b32 v6, v6, v4
	v_add_u32_e32 v7, 16, v2
	v_lshlrev_b32_e32 v3, 5, v3
	v_add_lshl_u32 v3, v3, v2, 2
	s_or_b64 s[0:1], s[8:9], s[2:3]
	s_waitcnt lgkmcnt(0)
	v_cmp_lt_f32_e32 vcc, v4, v6
	v_cndmask_b32_e32 v6, v4, v6, vcc
	v_cmp_lt_u32_e32 vcc, v7, v5
	v_cndmask_b32_e32 v4, v4, v6, vcc
	ds_bpermute_b32 v3, v3, v4
	v_add_u32_e32 v6, 32, v2
	s_or_b64 s[2:3], vcc, s[0:1]
	v_cmp_lt_u32_e32 vcc, v6, v5
	s_waitcnt lgkmcnt(0)
	v_cmp_lt_f32_e64 s[0:1], v4, v3
	s_and_b64 s[0:1], vcc, s[0:1]
	v_cndmask_b32_e64 v3, v4, v3, s[0:1]
	s_or_b64 vcc, vcc, s[2:3]
	v_cndmask_b32_e32 v1, v1, v3, vcc
	v_cmp_eq_u32_e32 vcc, 0, v2
	s_and_saveexec_b64 s[0:1], vcc
	s_cbranch_execz .LBB8_22
; %bb.21:
	v_lshrrev_b32_e32 v3, 4, v0
	v_and_b32_e32 v3, 60, v3
	ds_write_b32 v3, v1
.LBB8_22:
	s_or_b64 exec, exec, s[0:1]
	v_cmp_gt_u32_e32 vcc, 4, v0
	s_waitcnt lgkmcnt(0)
	s_barrier
	s_and_saveexec_b64 s[8:9], vcc
	s_cbranch_execz .LBB8_24
; %bb.23:
	v_lshlrev_b32_e32 v1, 2, v2
	ds_read_b32 v1, v1
	v_and_b32_e32 v3, 3, v2
	v_cmp_ne_u32_e32 vcc, 3, v3
	v_addc_co_u32_e32 v4, vcc, 0, v2, vcc
	v_lshlrev_b32_e32 v4, 2, v4
	s_waitcnt lgkmcnt(0)
	ds_bpermute_b32 v4, v4, v1
	s_add_i32 s0, s33, 63
	s_lshr_b32 s2, s0, 6
	v_cmp_gt_u32_e64 s[0:1], 2, v3
	v_add_u32_e32 v5, 1, v3
	s_waitcnt lgkmcnt(0)
	v_cmp_lt_f32_e32 vcc, v1, v4
	v_cndmask_b32_e64 v6, 0, 1, s[0:1]
	v_cndmask_b32_e32 v4, v1, v4, vcc
	v_cmp_gt_u32_e32 vcc, s2, v5
	v_lshlrev_b32_e32 v6, 1, v6
	v_cndmask_b32_e32 v5, v1, v4, vcc
	v_add_lshl_u32 v2, v6, v2, 2
	ds_bpermute_b32 v2, v2, v5
	v_add_u32_e32 v3, 2, v3
	v_cmp_gt_u32_e64 s[0:1], s2, v3
	s_waitcnt lgkmcnt(0)
	v_cmp_lt_f32_e64 s[2:3], v4, v2
	s_and_b64 s[0:1], s[0:1], s[2:3]
	v_cndmask_b32_e64 v2, v4, v2, s[0:1]
	v_cndmask_b32_e32 v1, v1, v2, vcc
.LBB8_24:
	s_or_b64 exec, exec, s[8:9]
	s_load_dwordx2 s[38:39], s[4:5], 0x8
	v_cmp_eq_u32_e32 vcc, 0, v0
	s_and_saveexec_b64 s[0:1], vcc
	s_cbranch_execz .LBB8_26
; %bb.25:
	s_mov_b32 s8, 0x42fe0000
	v_div_scale_f32 v2, s[2:3], s8, s8, v1
	v_rcp_f32_e32 v3, v2
	s_load_dwordx2 s[2:3], s[4:5], 0x10
	s_mov_b32 s7, s15
	s_lshl_b64 s[4:5], s[6:7], 2
	v_fma_f32 v5, -v2, v3, 1.0
	v_fmac_f32_e32 v3, v5, v3
	v_div_scale_f32 v5, vcc, v1, s8, v1
	v_mul_f32_e32 v6, v5, v3
	v_fma_f32 v7, -v2, v6, v5
	v_fmac_f32_e32 v6, v7, v3
	v_fma_f32 v2, -v2, v6, v5
	v_mov_b32_e32 v4, 0
	v_div_fmas_f32 v2, v2, v3, v6
	s_waitcnt lgkmcnt(0)
	s_add_u32 s2, s2, s4
	ds_write_b32 v4, v1 offset:16
	v_div_fixup_f32 v1, v2, s8, v1
	s_addc_u32 s3, s3, s5
	global_store_dword v4, v1, s[2:3]
.LBB8_26:
	s_or_b64 exec, exec, s[0:1]
	v_mov_b32_e32 v1, 0
	s_waitcnt lgkmcnt(0)
	s_barrier
	ds_read_b32 v1, v1 offset:16
	s_mov_b32 s2, 0x42fe0000
	s_waitcnt lgkmcnt(0)
	v_div_scale_f32 v2, s[0:1], v1, v1, s2
	v_rcp_f32_e32 v3, v2
	v_div_scale_f32 v4, vcc, s2, v1, s2
	s_mov_b64 s[0:1], -1
	v_fma_f32 v5, -v2, v3, 1.0
	v_fmac_f32_e32 v3, v5, v3
	v_mul_f32_e32 v5, v4, v3
	v_fma_f32 v6, -v2, v5, v4
	v_fmac_f32_e32 v5, v6, v3
	v_fma_f32 v2, -v2, v5, v4
	v_div_fmas_f32 v2, v2, v3, v5
	v_div_fixup_f32 v2, v2, v1, s2
	v_cmp_neq_f32_e32 vcc, 0, v1
	v_cndmask_b32_e32 v10, 0, v2, vcc
	s_and_b64 vcc, exec, s[12:13]
	s_cbranch_vccz .LBB8_47
; %bb.27:
	s_add_u32 s42, s38, s36
	s_addc_u32 s43, s39, s37
	s_sub_i32 s0, 0, s49
	v_cvt_f32_u32_e32 v1, s33
	s_bfe_u32 s0, s0, 0x40001
	s_min_i32 s40, s0, s48
	v_cmp_gt_i32_e32 vcc, s40, v0
	s_and_saveexec_b64 s[2:3], vcc
	s_cbranch_execz .LBB8_35
; %bb.28:
	v_rcp_iflag_f32_e32 v2, v1
	v_add_u32_e32 v3, s33, v0
	v_mov_b32_e32 v4, s33
	v_cmp_gt_i32_e32 vcc, s40, v3
	v_mul_f32_e32 v2, 0x4f7ffffe, v2
	v_cvt_u32_f32_e32 v2, v2
	v_max_i32_e32 v5, s40, v3
	v_addc_co_u32_e64 v3, s[0:1], v0, v4, vcc
	s_sub_i32 s0, 0, s33
	v_mul_lo_u32 v4, s0, v2
	v_mul_hi_u32 v4, v2, v4
	v_sub_u32_e32 v3, v5, v3
	v_add_u32_e32 v2, v2, v4
	v_mul_hi_u32 v2, v3, v2
	v_mul_lo_u32 v4, v2, s33
	v_sub_u32_e32 v3, v3, v4
	v_add_u32_e32 v4, 1, v2
	v_cmp_le_u32_e64 s[0:1], s33, v3
	v_cndmask_b32_e64 v2, v2, v4, s[0:1]
	v_subrev_u32_e32 v4, s33, v3
	v_cndmask_b32_e64 v3, v3, v4, s[0:1]
	v_add_u32_e32 v4, 1, v2
	v_cmp_le_u32_e64 s[0:1], s33, v3
	v_cndmask_b32_e64 v2, v2, v4, s[0:1]
	v_addc_co_u32_e32 v6, vcc, 1, v2, vcc
	s_cmp_eq_u32 s33, 1
	v_cmp_lt_u32_e32 vcc, 3, v6
	s_cselect_b64 s[0:1], -1, 0
	s_and_b64 s[6:7], vcc, s[0:1]
	s_mov_b64 s[4:5], -1
	v_mov_b32_e32 v2, v0
	s_and_saveexec_b64 s[0:1], s[6:7]
	s_cbranch_execz .LBB8_32
; %bb.29:
	v_and_b32_e32 v7, -4, v6
	v_mov_b32_e32 v11, v10
	s_mov_b64 s[4:5], 0
	v_mov_b32_e32 v3, 0
	v_mov_b32_e32 v8, s50
	;; [unrolled: 1-line block ×4, first 2 shown]
	s_mov_b32 s6, 0x42fe0000
	v_mov_b32_e32 v9, 0x42fe0000
	s_mov_b32 s7, 0xc3000000
	v_mov_b32_e32 v12, 0xc3000000
	v_mov_b32_e32 v2, v0
	;; [unrolled: 1-line block ×3, first 2 shown]
.LBB8_30:                               ; =>This Inner Loop Header: Depth=1
	v_lshlrev_b64 v[14:15], 1, v[2:3]
	v_add_co_u32_e32 v14, vcc, s49, v14
	v_addc_co_u32_e32 v15, vcc, v8, v15, vcc
	global_load_dwordx2 v[14:15], v[14:15], off
	v_add_u32_e32 v13, -4, v13
	s_waitcnt vmcnt(0)
	v_cvt_f32_f16_e32 v18, v14
	v_cvt_f32_f16_sdwa v19, v14 dst_sel:DWORD dst_unused:UNUSED_PAD src0_sel:WORD_1
	v_cvt_f32_f16_e32 v16, v15
	v_cvt_f32_f16_sdwa v17, v15 dst_sel:DWORD dst_unused:UNUSED_PAD src0_sel:WORD_1
	v_pk_mul_f32 v[14:15], v[10:11], v[18:19]
	v_rndne_f32_e32 v15, v15
	v_pk_mul_f32 v[16:17], v[4:5], v[16:17]
	v_rndne_f32_e32 v14, v14
	v_cmp_nlt_f32_e32 vcc, s6, v15
	v_rndne_f32_e32 v17, v17
	v_cndmask_b32_e32 v18, v9, v15, vcc
	v_cmp_nlt_f32_e32 vcc, s6, v14
	v_rndne_f32_e32 v16, v16
	v_cndmask_b32_e32 v19, v9, v14, vcc
	v_cmp_nlt_f32_e32 vcc, s6, v17
	v_cndmask_b32_e32 v20, v9, v17, vcc
	v_cmp_nlt_f32_e32 vcc, s6, v16
	v_cndmask_b32_e32 v21, v9, v16, vcc
	v_cmp_ngt_f32_e32 vcc, s7, v16
	v_cndmask_b32_e32 v16, v12, v21, vcc
	v_cmp_ngt_f32_e32 vcc, s7, v17
	;; [unrolled: 2-line block ×4, first 2 shown]
	v_cndmask_b32_e32 v15, v12, v18, vcc
	v_cvt_i32_f32_sdwa v15, v15 dst_sel:BYTE_1 dst_unused:UNUSED_PAD src0_sel:DWORD
	v_cvt_i32_f32_e32 v14, v14
	v_cvt_i32_f32_sdwa v17, v17 dst_sel:BYTE_1 dst_unused:UNUSED_PAD src0_sel:DWORD
	v_cvt_i32_f32_e32 v16, v16
	v_cmp_eq_u32_e32 vcc, 0, v13
	v_or_b32_sdwa v14, v14, v15 dst_sel:DWORD dst_unused:UNUSED_PAD src0_sel:BYTE_0 src1_sel:DWORD
	s_or_b64 s[4:5], vcc, s[4:5]
	v_or_b32_sdwa v15, v16, v17 dst_sel:WORD_1 dst_unused:UNUSED_PAD src0_sel:BYTE_0 src1_sel:DWORD
	v_or_b32_sdwa v14, v14, v15 dst_sel:DWORD dst_unused:UNUSED_PAD src0_sel:WORD_0 src1_sel:DWORD
	global_store_dword v2, v14, s[42:43]
	v_add_u32_e32 v2, 4, v2
	s_andn2_b64 exec, exec, s[4:5]
	s_cbranch_execnz .LBB8_30
; %bb.31:
	s_or_b64 exec, exec, s[4:5]
	v_cmp_ne_u32_e32 vcc, v6, v7
	v_add_u32_e32 v2, v0, v7
	s_orn2_b64 s[4:5], vcc, exec
.LBB8_32:
	s_or_b64 exec, exec, s[0:1]
	s_and_b64 exec, exec, s[4:5]
	s_cbranch_execz .LBB8_35
; %bb.33:
	v_mov_b32_e32 v3, 0
	s_add_u32 s1, s30, s34
	v_lshlrev_b64 v[4:5], 1, v[2:3]
	s_addc_u32 s4, s31, s35
	s_mov_b32 s0, 0
	v_mov_b32_e32 v6, s4
	v_add_co_u32_e32 v4, vcc, s1, v4
	v_addc_co_u32_e32 v5, vcc, v6, v5, vcc
	s_lshl_b32 s6, s33, 1
	s_mov_b64 s[4:5], 0
	v_mov_b32_e32 v6, s43
	s_mov_b32 s7, 0x42fe0000
	v_mov_b32_e32 v7, 0x42fe0000
	s_mov_b32 s8, 0xc3000000
	v_mov_b32_e32 v8, 0xc3000000
	v_mov_b32_e32 v9, s0
	;; [unrolled: 1-line block ×3, first 2 shown]
.LBB8_34:                               ; =>This Inner Loop Header: Depth=1
	global_load_ushort v14, v[4:5], off
	v_add_co_u32_e32 v12, vcc, s42, v2
	v_addc_co_u32_e32 v13, vcc, v6, v3, vcc
	v_add_co_u32_e32 v2, vcc, s33, v2
	v_addc_co_u32_e32 v3, vcc, v3, v9, vcc
	v_add_co_u32_e32 v4, vcc, s6, v4
	v_addc_co_u32_e32 v5, vcc, v5, v11, vcc
	v_cmp_le_i32_e32 vcc, s40, v2
	s_or_b64 s[4:5], vcc, s[4:5]
	s_waitcnt vmcnt(0)
	v_cvt_f32_f16_e32 v14, v14
	v_mul_f32_e32 v14, v10, v14
	v_rndne_f32_e32 v14, v14
	v_cmp_nlt_f32_e64 s[0:1], s7, v14
	v_cndmask_b32_e64 v15, v7, v14, s[0:1]
	v_cmp_ngt_f32_e64 s[0:1], s8, v14
	v_cndmask_b32_e64 v14, v8, v15, s[0:1]
	v_cvt_i32_f32_e32 v14, v14
	global_store_byte v[12:13], v14, off
	s_andn2_b64 exec, exec, s[4:5]
	s_cbranch_execnz .LBB8_34
.LBB8_35:
	s_or_b64 exec, exec, s[2:3]
	s_sub_i32 s51, s48, s40
	s_ashr_i32 s0, s51, 31
	s_lshr_b32 s0, s0, 28
	s_add_i32 s0, s51, s0
	s_ashr_i32 s52, s0, 4
	s_ashr_i32 s41, s40, 31
	v_cmp_gt_i32_e32 vcc, s52, v0
	s_and_saveexec_b64 s[44:45], vcc
	s_cbranch_execz .LBB8_38
; %bb.36:
	s_add_u32 s0, s40, s36
	s_addc_u32 s1, s41, s37
	s_add_u32 s0, s38, s0
	v_lshlrev_b32_e32 v2, 4, v0
	s_addc_u32 s1, s39, s1
	v_mov_b32_e32 v3, s1
	v_add_co_u32_e32 v12, vcc, s0, v2
	s_lshl_b32 s53, s33, 4
	s_lshl_b64 s[0:1], s[40:41], 1
	s_add_u32 s0, s30, s0
	s_addc_u32 s1, s31, s1
	s_add_u32 s0, s0, s34
	v_addc_co_u32_e32 v13, vcc, 0, v3, vcc
	v_lshlrev_b32_e32 v2, 5, v0
	s_addc_u32 s1, s1, s35
	s_mov_b32 s2, 0
	v_mov_b32_e32 v3, s1
	v_add_co_u32_e32 v14, vcc, s0, v2
	v_addc_co_u32_e32 v15, vcc, 0, v3, vcc
	s_lshl_b32 s54, s33, 5
	s_mov_b64 s[46:47], 0
	s_mov_b32 s55, 0x42fe0000
	v_mov_b32_e32 v11, 0x42fe0000
	s_mov_b32 s56, 0xc3000000
	v_mov_b32_e32 v16, 0xc3000000
	v_mov_b32_e32 v17, s2
	;; [unrolled: 1-line block ×4, first 2 shown]
.LBB8_37:                               ; =>This Inner Loop Header: Depth=1
	global_load_dwordx4 v[6:9], v[14:15], off
	global_load_dwordx4 v[2:5], v[14:15], off offset:16
	v_add_co_u32_e32 v14, vcc, s54, v14
	v_add_u32_e32 v19, s33, v19
	v_addc_co_u32_e32 v15, vcc, v15, v18, vcc
	v_cmp_le_i32_e32 vcc, s52, v19
	s_or_b64 s[46:47], vcc, s[46:47]
	s_waitcnt vmcnt(1)
	v_cvt_f32_f16_e32 v20, v6
	v_cvt_f32_f16_sdwa v6, v6 dst_sel:DWORD dst_unused:UNUSED_PAD src0_sel:WORD_1
	v_cvt_f32_f16_e32 v21, v7
	v_cvt_f32_f16_sdwa v7, v7 dst_sel:DWORD dst_unused:UNUSED_PAD src0_sel:WORD_1
	;; [unrolled: 2-line block ×4, first 2 shown]
	s_waitcnt vmcnt(0)
	v_cvt_f32_f16_e32 v24, v2
	v_cvt_f32_f16_sdwa v2, v2 dst_sel:DWORD dst_unused:UNUSED_PAD src0_sel:WORD_1
	v_cvt_f32_f16_e32 v25, v3
	v_cvt_f32_f16_sdwa v3, v3 dst_sel:DWORD dst_unused:UNUSED_PAD src0_sel:WORD_1
	;; [unrolled: 2-line block ×4, first 2 shown]
	v_mul_f32_e32 v20, v10, v20
	v_mul_f32_e32 v6, v10, v6
	;; [unrolled: 1-line block ×16, first 2 shown]
	v_rndne_f32_e32 v20, v20
	v_rndne_f32_e32 v6, v6
	;; [unrolled: 1-line block ×16, first 2 shown]
	v_cmp_nlt_f32_e32 vcc, s55, v20
	v_cndmask_b32_e32 v28, v11, v20, vcc
	v_cmp_nlt_f32_e32 vcc, s55, v6
	v_cmp_nlt_f32_e64 s[0:1], s55, v21
	v_cmp_nlt_f32_e64 s[2:3], s55, v7
	;; [unrolled: 1-line block ×14, first 2 shown]
	v_cndmask_b32_e32 v29, v11, v6, vcc
	v_cmp_ngt_f32_e32 vcc, s56, v6
	v_cndmask_b32_e64 v6, v11, v21, s[0:1]
	v_cmp_ngt_f32_e64 s[0:1], s56, v21
	v_cndmask_b32_e64 v21, v11, v7, s[2:3]
	v_cmp_ngt_f32_e64 s[2:3], s56, v7
	;; [unrolled: 2-line block ×14, first 2 shown]
	v_cmp_ngt_f32_e64 s[28:29], s56, v20
	v_cndmask_b32_e64 v5, v16, v28, s[28:29]
	v_cndmask_b32_e32 v20, v16, v29, vcc
	v_cndmask_b32_e64 v6, v16, v6, s[0:1]
	v_cndmask_b32_e64 v21, v16, v21, s[2:3]
	;; [unrolled: 1-line block ×14, first 2 shown]
	v_cvt_i32_f32_e32 v5, v5
	v_cvt_i32_f32_sdwa v20, v20 dst_sel:BYTE_1 dst_unused:UNUSED_PAD src0_sel:DWORD
	v_cvt_i32_f32_e32 v6, v6
	v_cvt_i32_f32_sdwa v21, v21 dst_sel:BYTE_1 dst_unused:UNUSED_PAD src0_sel:DWORD
	;; [unrolled: 2-line block ×8, first 2 shown]
	v_or_b32_sdwa v3, v3, v26 dst_sel:DWORD dst_unused:UNUSED_PAD src0_sel:BYTE_0 src1_sel:DWORD
	v_or_b32_sdwa v4, v4, v27 dst_sel:WORD_1 dst_unused:UNUSED_PAD src0_sel:BYTE_0 src1_sel:DWORD
	v_or_b32_sdwa v9, v9, v24 dst_sel:DWORD dst_unused:UNUSED_PAD src0_sel:BYTE_0 src1_sel:DWORD
	v_or_b32_sdwa v2, v2, v25 dst_sel:WORD_1 dst_unused:UNUSED_PAD src0_sel:BYTE_0 src1_sel:DWORD
	;; [unrolled: 2-line block ×4, first 2 shown]
	v_or_b32_sdwa v5, v3, v4 dst_sel:DWORD dst_unused:UNUSED_PAD src0_sel:WORD_0 src1_sel:DWORD
	v_or_b32_sdwa v4, v9, v2 dst_sel:DWORD dst_unused:UNUSED_PAD src0_sel:WORD_0 src1_sel:DWORD
	;; [unrolled: 1-line block ×4, first 2 shown]
	global_store_dwordx4 v[12:13], v[2:5], off
	v_add_co_u32_e32 v12, vcc, s53, v12
	v_addc_co_u32_e32 v13, vcc, v13, v17, vcc
	s_andn2_b64 exec, exec, s[46:47]
	s_cbranch_execnz .LBB8_37
.LBB8_38:
	s_or_b64 exec, exec, s[44:45]
	v_lshl_add_u32 v2, s52, 4, v0
	v_cmp_gt_i32_e32 vcc, s51, v2
	s_and_saveexec_b64 s[2:3], vcc
	s_cbranch_execz .LBB8_46
; %bb.39:
	v_rcp_iflag_f32_e32 v1, v1
	v_add_u32_e32 v3, s33, v2
	v_mov_b32_e32 v5, s33
	v_cmp_gt_i32_e32 vcc, s51, v3
	v_mul_f32_e32 v1, 0x4f7ffffe, v1
	v_cvt_u32_f32_e32 v1, v1
	s_add_u32 s6, s42, s40
	v_max_i32_e32 v4, s51, v3
	v_addc_co_u32_e64 v3, s[0:1], v2, v5, vcc
	s_addc_u32 s7, s43, s41
	s_sub_i32 s0, 0, s33
	v_sub_u32_e32 v3, v4, v3
	v_mul_lo_u32 v4, s0, v1
	v_mul_hi_u32 v4, v1, v4
	v_add_u32_e32 v1, v1, v4
	v_mul_hi_u32 v1, v3, v1
	v_mul_lo_u32 v4, v1, s33
	v_sub_u32_e32 v3, v3, v4
	v_add_u32_e32 v4, 1, v1
	v_cmp_le_u32_e64 s[0:1], s33, v3
	v_cndmask_b32_e64 v1, v1, v4, s[0:1]
	v_subrev_u32_e32 v4, s33, v3
	v_cndmask_b32_e64 v3, v3, v4, s[0:1]
	v_add_u32_e32 v4, 1, v1
	v_cmp_le_u32_e64 s[0:1], s33, v3
	v_cndmask_b32_e64 v1, v1, v4, s[0:1]
	v_addc_co_u32_e32 v1, vcc, 1, v1, vcc
	s_cmp_eq_u32 s33, 1
	v_cmp_lt_u32_e32 vcc, 3, v1
	s_cselect_b64 s[0:1], -1, 0
	s_and_b64 s[8:9], vcc, s[0:1]
	s_mov_b64 s[4:5], -1
	s_and_saveexec_b64 s[0:1], s[8:9]
	s_cbranch_execz .LBB8_43
; %bb.40:
	s_lshl_b64 s[4:5], s[40:41], 1
	s_add_u32 s8, s49, s4
	s_addc_u32 s9, s50, s5
	v_and_b32_e32 v3, -4, v1
	v_mov_b32_e32 v11, v10
	s_mov_b64 s[4:5], 0
	v_mov_b32_e32 v8, s7
	v_mov_b32_e32 v9, s9
	;; [unrolled: 1-line block ×4, first 2 shown]
	s_mov_b32 s9, 0x42fe0000
	v_mov_b32_e32 v12, 0x42fe0000
	s_mov_b32 s10, 0xc3000000
	v_mov_b32_e32 v13, 0xc3000000
	v_mov_b32_e32 v6, v2
	;; [unrolled: 1-line block ×3, first 2 shown]
.LBB8_41:                               ; =>This Inner Loop Header: Depth=1
	v_ashrrev_i32_e32 v7, 31, v6
	v_lshlrev_b64 v[16:17], 1, v[6:7]
	v_add_co_u32_e32 v16, vcc, s8, v16
	v_addc_co_u32_e32 v17, vcc, v9, v17, vcc
	global_load_dwordx2 v[16:17], v[16:17], off
	v_add_u32_e32 v14, -4, v14
	s_waitcnt vmcnt(0)
	v_cvt_f32_f16_e32 v18, v17
	v_cvt_f32_f16_sdwa v19, v17 dst_sel:DWORD dst_unused:UNUSED_PAD src0_sel:WORD_1
	v_cvt_f32_f16_e32 v20, v16
	v_cvt_f32_f16_sdwa v21, v16 dst_sel:DWORD dst_unused:UNUSED_PAD src0_sel:WORD_1
	v_add_co_u32_e32 v16, vcc, s6, v6
	v_pk_mul_f32 v[18:19], v[4:5], v[18:19]
	v_pk_mul_f32 v[20:21], v[10:11], v[20:21]
	v_addc_co_u32_e32 v17, vcc, v8, v7, vcc
	v_rndne_f32_e32 v15, v19
	v_rndne_f32_e32 v19, v21
	v_rndne_f32_e32 v7, v18
	v_rndne_f32_e32 v18, v20
	v_cmp_nlt_f32_e32 vcc, s9, v19
	v_cndmask_b32_e32 v20, v12, v19, vcc
	v_cmp_nlt_f32_e32 vcc, s9, v18
	v_cndmask_b32_e32 v21, v12, v18, vcc
	;; [unrolled: 2-line block ×4, first 2 shown]
	v_cmp_ngt_f32_e32 vcc, s10, v7
	v_cndmask_b32_e32 v7, v13, v23, vcc
	v_cmp_ngt_f32_e32 vcc, s10, v15
	v_cndmask_b32_e32 v15, v13, v22, vcc
	;; [unrolled: 2-line block ×4, first 2 shown]
	v_cvt_i32_f32_sdwa v19, v19 dst_sel:BYTE_1 dst_unused:UNUSED_PAD src0_sel:DWORD
	v_cvt_i32_f32_e32 v18, v18
	v_cvt_i32_f32_sdwa v15, v15 dst_sel:BYTE_1 dst_unused:UNUSED_PAD src0_sel:DWORD
	v_cvt_i32_f32_e32 v7, v7
	v_cmp_eq_u32_e32 vcc, 0, v14
	v_or_b32_sdwa v18, v18, v19 dst_sel:DWORD dst_unused:UNUSED_PAD src0_sel:BYTE_0 src1_sel:DWORD
	s_or_b64 s[4:5], vcc, s[4:5]
	v_or_b32_sdwa v7, v7, v15 dst_sel:WORD_1 dst_unused:UNUSED_PAD src0_sel:BYTE_0 src1_sel:DWORD
	v_or_b32_sdwa v7, v18, v7 dst_sel:DWORD dst_unused:UNUSED_PAD src0_sel:WORD_0 src1_sel:DWORD
	v_add_u32_e32 v6, 4, v6
	global_store_dword v[16:17], v7, off
	s_andn2_b64 exec, exec, s[4:5]
	s_cbranch_execnz .LBB8_41
; %bb.42:
	s_or_b64 exec, exec, s[4:5]
	v_cmp_ne_u32_e32 vcc, v1, v3
	v_add_u32_e32 v2, v2, v3
	s_orn2_b64 s[4:5], vcc, exec
.LBB8_43:
	s_or_b64 exec, exec, s[0:1]
	s_and_b64 exec, exec, s[4:5]
	s_cbranch_execz .LBB8_46
; %bb.44:
	s_lshl_b64 s[0:1], s[40:41], 1
	s_add_u32 s0, s34, s0
	s_addc_u32 s1, s35, s1
	v_ashrrev_i32_e32 v3, 31, v2
	s_add_u32 s0, s30, s0
	v_lshlrev_b64 v[4:5], 1, v[2:3]
	s_addc_u32 s1, s31, s1
	s_mov_b32 s10, 0
	v_mov_b32_e32 v1, s1
	v_add_co_u32_e32 v4, vcc, s0, v4
	v_addc_co_u32_e32 v5, vcc, v1, v5, vcc
	s_lshl_b32 s8, s33, 1
	s_mov_b64 s[4:5], 0
	v_mov_b32_e32 v1, s7
	s_mov_b32 s7, 0x42fe0000
	v_mov_b32_e32 v6, 0x42fe0000
	s_mov_b32 s9, 0xc3000000
	v_mov_b32_e32 v7, 0xc3000000
	v_mov_b32_e32 v8, s10
	;; [unrolled: 1-line block ×3, first 2 shown]
.LBB8_45:                               ; =>This Inner Loop Header: Depth=1
	global_load_ushort v11, v[4:5], off
	v_add_co_u32_e32 v12, vcc, s6, v2
	v_addc_co_u32_e32 v13, vcc, v1, v3, vcc
	v_add_co_u32_e32 v2, vcc, s33, v2
	v_addc_co_u32_e32 v3, vcc, v3, v8, vcc
	;; [unrolled: 2-line block ×3, first 2 shown]
	v_cmp_le_i32_e32 vcc, s51, v2
	s_or_b64 s[4:5], vcc, s[4:5]
	s_waitcnt vmcnt(0)
	v_cvt_f32_f16_e32 v11, v11
	v_mul_f32_e32 v11, v10, v11
	v_rndne_f32_e32 v11, v11
	v_cmp_nlt_f32_e64 s[0:1], s7, v11
	v_cndmask_b32_e64 v14, v6, v11, s[0:1]
	v_cmp_ngt_f32_e64 s[0:1], s9, v11
	v_cndmask_b32_e64 v11, v7, v14, s[0:1]
	v_cvt_i32_f32_e32 v11, v11
	global_store_byte v[12:13], v11, off
	s_andn2_b64 exec, exec, s[4:5]
	s_cbranch_execnz .LBB8_45
.LBB8_46:
	s_or_b64 exec, exec, s[2:3]
	s_mov_b64 s[0:1], 0
.LBB8_47:
	s_and_b64 vcc, exec, s[0:1]
	s_cbranch_vccz .LBB8_51
; %bb.48:
	s_ashr_i32 s40, s48, 4
	v_cmp_gt_i32_e32 vcc, s40, v0
	s_and_saveexec_b64 s[0:1], vcc
	s_cbranch_execz .LBB8_51
; %bb.49:
	s_add_u32 s1, s38, s36
	v_lshlrev_b32_e32 v1, 4, v0
	s_addc_u32 s2, s39, s37
	s_lshl_b32 s36, s33, 4
	v_mov_b32_e32 v2, s2
	v_add_co_u32_e32 v12, vcc, s1, v1
	s_add_u32 s1, s30, s34
	v_addc_co_u32_e32 v13, vcc, 0, v2, vcc
	v_lshlrev_b32_e32 v1, 5, v0
	s_addc_u32 s2, s31, s35
	s_mov_b32 s0, 0
	v_mov_b32_e32 v2, s2
	v_add_co_u32_e32 v14, vcc, s1, v1
	v_addc_co_u32_e32 v15, vcc, 0, v2, vcc
	s_lshl_b32 s34, s33, 5
	s_mov_b64 s[30:31], 0
	s_mov_b32 s35, 0x42fe0000
	v_mov_b32_e32 v1, 0x42fe0000
	s_mov_b32 s37, 0xc3000000
	v_mov_b32_e32 v11, 0xc3000000
	v_mov_b32_e32 v16, s0
	;; [unrolled: 1-line block ×3, first 2 shown]
.LBB8_50:                               ; =>This Inner Loop Header: Depth=1
	global_load_dwordx4 v[6:9], v[14:15], off
	global_load_dwordx4 v[2:5], v[14:15], off offset:16
	v_add_co_u32_e32 v14, vcc, s34, v14
	v_add_u32_e32 v0, s33, v0
	v_addc_co_u32_e32 v15, vcc, v15, v17, vcc
	v_cmp_le_i32_e32 vcc, s40, v0
	s_or_b64 s[30:31], vcc, s[30:31]
	s_waitcnt vmcnt(1)
	v_cvt_f32_f16_e32 v18, v6
	v_cvt_f32_f16_sdwa v6, v6 dst_sel:DWORD dst_unused:UNUSED_PAD src0_sel:WORD_1
	v_cvt_f32_f16_e32 v19, v7
	v_cvt_f32_f16_sdwa v7, v7 dst_sel:DWORD dst_unused:UNUSED_PAD src0_sel:WORD_1
	;; [unrolled: 2-line block ×4, first 2 shown]
	s_waitcnt vmcnt(0)
	v_cvt_f32_f16_e32 v22, v2
	v_cvt_f32_f16_sdwa v2, v2 dst_sel:DWORD dst_unused:UNUSED_PAD src0_sel:WORD_1
	v_cvt_f32_f16_e32 v23, v3
	v_cvt_f32_f16_sdwa v3, v3 dst_sel:DWORD dst_unused:UNUSED_PAD src0_sel:WORD_1
	;; [unrolled: 2-line block ×4, first 2 shown]
	v_mul_f32_e32 v18, v10, v18
	v_mul_f32_e32 v6, v10, v6
	;; [unrolled: 1-line block ×16, first 2 shown]
	v_rndne_f32_e32 v18, v18
	v_rndne_f32_e32 v6, v6
	;; [unrolled: 1-line block ×16, first 2 shown]
	v_cmp_nlt_f32_e32 vcc, s35, v18
	v_cndmask_b32_e32 v26, v1, v18, vcc
	v_cmp_nlt_f32_e32 vcc, s35, v6
	v_cmp_nlt_f32_e64 s[0:1], s35, v19
	v_cmp_nlt_f32_e64 s[2:3], s35, v7
	;; [unrolled: 1-line block ×14, first 2 shown]
	v_cndmask_b32_e32 v27, v1, v6, vcc
	v_cmp_ngt_f32_e32 vcc, s37, v6
	v_cndmask_b32_e64 v6, v1, v19, s[0:1]
	v_cmp_ngt_f32_e64 s[0:1], s37, v19
	v_cndmask_b32_e64 v19, v1, v7, s[2:3]
	v_cmp_ngt_f32_e64 s[2:3], s37, v7
	;; [unrolled: 2-line block ×14, first 2 shown]
	v_cmp_ngt_f32_e64 s[28:29], s37, v18
	v_cndmask_b32_e64 v5, v11, v26, s[28:29]
	v_cndmask_b32_e32 v18, v11, v27, vcc
	v_cndmask_b32_e64 v6, v11, v6, s[0:1]
	v_cndmask_b32_e64 v19, v11, v19, s[2:3]
	;; [unrolled: 1-line block ×14, first 2 shown]
	v_cvt_i32_f32_e32 v5, v5
	v_cvt_i32_f32_sdwa v18, v18 dst_sel:BYTE_1 dst_unused:UNUSED_PAD src0_sel:DWORD
	v_cvt_i32_f32_e32 v6, v6
	v_cvt_i32_f32_sdwa v19, v19 dst_sel:BYTE_1 dst_unused:UNUSED_PAD src0_sel:DWORD
	;; [unrolled: 2-line block ×8, first 2 shown]
	v_or_b32_sdwa v3, v3, v24 dst_sel:DWORD dst_unused:UNUSED_PAD src0_sel:BYTE_0 src1_sel:DWORD
	v_or_b32_sdwa v4, v4, v25 dst_sel:WORD_1 dst_unused:UNUSED_PAD src0_sel:BYTE_0 src1_sel:DWORD
	v_or_b32_sdwa v9, v9, v22 dst_sel:DWORD dst_unused:UNUSED_PAD src0_sel:BYTE_0 src1_sel:DWORD
	v_or_b32_sdwa v2, v2, v23 dst_sel:WORD_1 dst_unused:UNUSED_PAD src0_sel:BYTE_0 src1_sel:DWORD
	;; [unrolled: 2-line block ×4, first 2 shown]
	v_or_b32_sdwa v5, v3, v4 dst_sel:DWORD dst_unused:UNUSED_PAD src0_sel:WORD_0 src1_sel:DWORD
	v_or_b32_sdwa v4, v9, v2 dst_sel:DWORD dst_unused:UNUSED_PAD src0_sel:WORD_0 src1_sel:DWORD
	v_or_b32_sdwa v3, v7, v8 dst_sel:DWORD dst_unused:UNUSED_PAD src0_sel:WORD_0 src1_sel:DWORD
	v_or_b32_sdwa v2, v18, v6 dst_sel:DWORD dst_unused:UNUSED_PAD src0_sel:WORD_0 src1_sel:DWORD
	global_store_dwordx4 v[12:13], v[2:5], off
	v_add_co_u32_e32 v12, vcc, s36, v12
	v_addc_co_u32_e32 v13, vcc, v13, v16, vcc
	s_andn2_b64 exec, exec, s[30:31]
	s_cbranch_execnz .LBB8_50
.LBB8_51:
	s_endpgm
	.section	.rodata,"a",@progbits
	.p2align	6, 0x0
	.amdhsa_kernel _ZN4vllm32dynamic_scaled_int8_quant_kernelIN3c104HalfEfEEvPKT_PaPT0_i
		.amdhsa_group_segment_fixed_size 20
		.amdhsa_private_segment_fixed_size 0
		.amdhsa_kernarg_size 288
		.amdhsa_user_sgpr_count 6
		.amdhsa_user_sgpr_private_segment_buffer 1
		.amdhsa_user_sgpr_dispatch_ptr 0
		.amdhsa_user_sgpr_queue_ptr 0
		.amdhsa_user_sgpr_kernarg_segment_ptr 1
		.amdhsa_user_sgpr_dispatch_id 0
		.amdhsa_user_sgpr_flat_scratch_init 0
		.amdhsa_user_sgpr_kernarg_preload_length 0
		.amdhsa_user_sgpr_kernarg_preload_offset 0
		.amdhsa_user_sgpr_private_segment_size 0
		.amdhsa_uses_dynamic_stack 0
		.amdhsa_system_sgpr_private_segment_wavefront_offset 0
		.amdhsa_system_sgpr_workgroup_id_x 1
		.amdhsa_system_sgpr_workgroup_id_y 0
		.amdhsa_system_sgpr_workgroup_id_z 0
		.amdhsa_system_sgpr_workgroup_info 0
		.amdhsa_system_vgpr_workitem_id 0
		.amdhsa_next_free_vgpr 30
		.amdhsa_next_free_sgpr 57
		.amdhsa_accum_offset 32
		.amdhsa_reserve_vcc 1
		.amdhsa_reserve_flat_scratch 0
		.amdhsa_float_round_mode_32 0
		.amdhsa_float_round_mode_16_64 0
		.amdhsa_float_denorm_mode_32 3
		.amdhsa_float_denorm_mode_16_64 3
		.amdhsa_dx10_clamp 1
		.amdhsa_ieee_mode 1
		.amdhsa_fp16_overflow 0
		.amdhsa_tg_split 0
		.amdhsa_exception_fp_ieee_invalid_op 0
		.amdhsa_exception_fp_denorm_src 0
		.amdhsa_exception_fp_ieee_div_zero 0
		.amdhsa_exception_fp_ieee_overflow 0
		.amdhsa_exception_fp_ieee_underflow 0
		.amdhsa_exception_fp_ieee_inexact 0
		.amdhsa_exception_int_div_zero 0
	.end_amdhsa_kernel
	.section	.text._ZN4vllm32dynamic_scaled_int8_quant_kernelIN3c104HalfEfEEvPKT_PaPT0_i,"axG",@progbits,_ZN4vllm32dynamic_scaled_int8_quant_kernelIN3c104HalfEfEEvPKT_PaPT0_i,comdat
.Lfunc_end8:
	.size	_ZN4vllm32dynamic_scaled_int8_quant_kernelIN3c104HalfEfEEvPKT_PaPT0_i, .Lfunc_end8-_ZN4vllm32dynamic_scaled_int8_quant_kernelIN3c104HalfEfEEvPKT_PaPT0_i
                                        ; -- End function
	.section	.AMDGPU.csdata,"",@progbits
; Kernel info:
; codeLenInByte = 5756
; NumSgprs: 61
; NumVgprs: 30
; NumAgprs: 0
; TotalNumVgprs: 30
; ScratchSize: 0
; MemoryBound: 0
; FloatMode: 240
; IeeeMode: 1
; LDSByteSize: 20 bytes/workgroup (compile time only)
; SGPRBlocks: 7
; VGPRBlocks: 3
; NumSGPRsForWavesPerEU: 61
; NumVGPRsForWavesPerEU: 30
; AccumOffset: 32
; Occupancy: 8
; WaveLimiterHint : 0
; COMPUTE_PGM_RSRC2:SCRATCH_EN: 0
; COMPUTE_PGM_RSRC2:USER_SGPR: 6
; COMPUTE_PGM_RSRC2:TRAP_HANDLER: 0
; COMPUTE_PGM_RSRC2:TGID_X_EN: 1
; COMPUTE_PGM_RSRC2:TGID_Y_EN: 0
; COMPUTE_PGM_RSRC2:TGID_Z_EN: 0
; COMPUTE_PGM_RSRC2:TIDIG_COMP_CNT: 0
; COMPUTE_PGM_RSRC3_GFX90A:ACCUM_OFFSET: 7
; COMPUTE_PGM_RSRC3_GFX90A:TG_SPLIT: 0
	.section	.text._ZN4vllm36dynamic_scaled_int8_azp_quant_kernelIN3c104HalfEfiEEvPKT_PaPT0_PT1_i,"axG",@progbits,_ZN4vllm36dynamic_scaled_int8_azp_quant_kernelIN3c104HalfEfiEEvPKT_PaPT0_PT1_i,comdat
	.protected	_ZN4vllm36dynamic_scaled_int8_azp_quant_kernelIN3c104HalfEfiEEvPKT_PaPT0_PT1_i ; -- Begin function _ZN4vllm36dynamic_scaled_int8_azp_quant_kernelIN3c104HalfEfiEEvPKT_PaPT0_PT1_i
	.globl	_ZN4vllm36dynamic_scaled_int8_azp_quant_kernelIN3c104HalfEfiEEvPKT_PaPT0_PT1_i
	.p2align	8
	.type	_ZN4vllm36dynamic_scaled_int8_azp_quant_kernelIN3c104HalfEfiEEvPKT_PaPT0_PT1_i,@function
_ZN4vllm36dynamic_scaled_int8_azp_quant_kernelIN3c104HalfEfiEEvPKT_PaPT0_PT1_i: ; @_ZN4vllm36dynamic_scaled_int8_azp_quant_kernelIN3c104HalfEfiEEvPKT_PaPT0_PT1_i
; %bb.0:
	s_load_dword s31, s[4:5], 0x20
	s_load_dword s0, s[4:5], 0x34
	s_load_dwordx2 s[8:9], s[4:5], 0x0
	s_mov_b32 s7, 0
	s_waitcnt lgkmcnt(0)
	s_ashr_i32 s1, s31, 31
	s_and_b32 s28, s0, 0xffff
	s_mul_hi_u32 s0, s31, s6
	s_mul_i32 s1, s1, s6
	s_add_i32 s13, s0, s1
	s_mul_i32 s12, s31, s6
	s_lshl_b64 s[10:11], s[12:13], 1
	s_add_u32 s29, s8, s10
	s_addc_u32 s30, s9, s11
	s_and_b32 s0, s29, 31
	s_mov_b32 s1, s7
	s_cmp_lg_u64 s[0:1], 0
	s_cselect_b64 s[0:1], -1, 0
	s_and_b32 s2, s31, 15
	s_cmp_lg_u32 s2, 0
	s_cselect_b64 s[2:3], -1, 0
	s_or_b64 s[0:1], s[2:3], s[0:1]
	s_and_b64 vcc, exec, s[0:1]
	s_cbranch_vccz .LBB9_14
; %bb.1:
	s_sub_i32 s2, 0, s29
	s_bfe_u32 s2, s2, 0x40001
	s_min_i32 s2, s2, s31
	v_cmp_gt_i32_e32 vcc, s2, v0
	v_mov_b32_e32 v3, 0xff7fffff
	v_mov_b32_e32 v2, 0x7f7fffff
	s_and_saveexec_b64 s[14:15], vcc
	s_cbranch_execz .LBB9_5
; %bb.2:
	s_add_u32 s3, s8, s10
	v_lshlrev_b32_e32 v1, 1, v0
	s_addc_u32 s16, s9, s11
	s_mov_b32 s18, 0
	v_mov_b32_e32 v2, s16
	v_add_co_u32_e32 v4, vcc, s3, v1
	v_addc_co_u32_e32 v5, vcc, 0, v2, vcc
	s_lshl_b32 s3, s28, 1
	s_mov_b64 s[16:17], 0
	v_mov_b32_e32 v3, 0xff7fffff
	v_mov_b32_e32 v2, 0x7f7fffff
	v_mov_b32_e32 v1, s18
	v_mov_b32_e32 v6, v0
.LBB9_3:                                ; =>This Inner Loop Header: Depth=1
	global_load_ushort v7, v[4:5], off
	v_add_co_u32_e32 v4, vcc, s3, v4
	v_add_u32_e32 v6, s28, v6
	v_addc_co_u32_e32 v5, vcc, v5, v1, vcc
	v_max_f32_e32 v2, v2, v2
	v_max_f32_e32 v3, v3, v3
	v_cmp_le_i32_e32 vcc, s2, v6
	s_or_b64 s[16:17], vcc, s[16:17]
	s_waitcnt vmcnt(0)
	v_cvt_f32_f16_e32 v7, v7
	v_min_f32_e32 v2, v2, v7
	v_max_f32_e32 v3, v3, v7
	s_andn2_b64 exec, exec, s[16:17]
	s_cbranch_execnz .LBB9_3
; %bb.4:
	s_or_b64 exec, exec, s[16:17]
.LBB9_5:
	s_or_b64 exec, exec, s[14:15]
	s_sub_i32 s18, s31, s2
	s_ashr_i32 s14, s18, 31
	s_lshr_b32 s14, s14, 28
	s_add_i32 s14, s18, s14
	s_ashr_i32 s19, s14, 4
	s_ashr_i32 s3, s2, 31
	v_cmp_gt_i32_e32 vcc, s19, v0
	s_and_saveexec_b64 s[14:15], vcc
	s_cbranch_execz .LBB9_9
; %bb.6:
	s_lshl_b64 s[16:17], s[2:3], 1
	s_add_u32 s16, s8, s16
	s_addc_u32 s17, s9, s17
	s_add_u32 s16, s16, s10
	v_lshlrev_b32_e32 v1, 5, v0
	s_addc_u32 s17, s17, s11
	s_mov_b32 s21, 0
	v_mov_b32_e32 v5, s17
	v_add_co_u32_e32 v4, vcc, s16, v1
	v_addc_co_u32_e32 v5, vcc, 0, v5, vcc
	s_lshl_b32 s20, s28, 5
	s_mov_b64 s[16:17], 0
	v_mov_b32_e32 v1, s21
	v_mov_b32_e32 v6, v0
.LBB9_7:                                ; =>This Inner Loop Header: Depth=1
	global_load_dwordx4 v[8:11], v[4:5], off
	global_load_dwordx4 v[12:15], v[4:5], off offset:16
	v_add_co_u32_e32 v4, vcc, s20, v4
	v_add_u32_e32 v6, s28, v6
	v_addc_co_u32_e32 v5, vcc, v5, v1, vcc
	v_cmp_le_i32_e32 vcc, s19, v6
	s_or_b64 s[16:17], vcc, s[16:17]
	s_waitcnt vmcnt(1)
	v_cvt_f32_f16_e32 v7, v8
	v_cvt_f32_f16_sdwa v8, v8 dst_sel:DWORD dst_unused:UNUSED_PAD src0_sel:WORD_1
	v_cvt_f32_f16_e32 v16, v9
	v_cvt_f32_f16_sdwa v9, v9 dst_sel:DWORD dst_unused:UNUSED_PAD src0_sel:WORD_1
	;; [unrolled: 2-line block ×4, first 2 shown]
	s_waitcnt vmcnt(0)
	v_cvt_f32_f16_e32 v19, v12
	v_cvt_f32_f16_sdwa v12, v12 dst_sel:DWORD dst_unused:UNUSED_PAD src0_sel:WORD_1
	v_min3_f32 v2, v2, v7, v8
	v_max3_f32 v3, v3, v7, v8
	v_cvt_f32_f16_e32 v20, v13
	v_cvt_f32_f16_sdwa v13, v13 dst_sel:DWORD dst_unused:UNUSED_PAD src0_sel:WORD_1
	v_min3_f32 v2, v2, v16, v9
	v_max3_f32 v3, v3, v16, v9
	;; [unrolled: 4-line block ×4, first 2 shown]
	v_min3_f32 v2, v2, v19, v12
	v_max3_f32 v3, v3, v19, v12
	v_min3_f32 v2, v2, v20, v13
	v_max3_f32 v3, v3, v20, v13
	;; [unrolled: 2-line block ×4, first 2 shown]
	s_andn2_b64 exec, exec, s[16:17]
	s_cbranch_execnz .LBB9_7
; %bb.8:
	s_or_b64 exec, exec, s[16:17]
.LBB9_9:
	s_or_b64 exec, exec, s[14:15]
	v_lshl_add_u32 v4, s19, 4, v0
	v_cmp_gt_i32_e32 vcc, s18, v4
	s_and_saveexec_b64 s[14:15], vcc
	s_cbranch_execz .LBB9_13
; %bb.10:
	s_lshl_b64 s[2:3], s[2:3], 1
	s_add_u32 s2, s10, s2
	s_addc_u32 s3, s11, s3
	v_ashrrev_i32_e32 v5, 31, v4
	s_add_u32 s2, s8, s2
	v_lshlrev_b64 v[6:7], 1, v[4:5]
	s_addc_u32 s3, s9, s3
	v_mov_b32_e32 v1, s3
	v_add_co_u32_e32 v6, vcc, s2, v6
	s_mov_b32 s17, 0
	v_addc_co_u32_e32 v7, vcc, v1, v7, vcc
	s_lshl_b32 s16, s28, 1
	s_mov_b64 s[2:3], 0
	v_mov_b32_e32 v1, s17
.LBB9_11:                               ; =>This Inner Loop Header: Depth=1
	global_load_ushort v5, v[6:7], off
	v_add_co_u32_e32 v6, vcc, s16, v6
	v_add_u32_e32 v4, s28, v4
	v_addc_co_u32_e32 v7, vcc, v7, v1, vcc
	v_max_f32_e32 v2, v2, v2
	v_max_f32_e32 v3, v3, v3
	v_cmp_le_i32_e32 vcc, s18, v4
	s_or_b64 s[2:3], vcc, s[2:3]
	s_waitcnt vmcnt(0)
	v_cvt_f32_f16_e32 v5, v5
	v_min_f32_e32 v2, v2, v5
	v_max_f32_e32 v3, v3, v5
	s_andn2_b64 exec, exec, s[2:3]
	s_cbranch_execnz .LBB9_11
; %bb.12:
	s_or_b64 exec, exec, s[2:3]
.LBB9_13:
	s_or_b64 exec, exec, s[14:15]
	s_branch .LBB9_20
.LBB9_14:
                                        ; implicit-def: $vgpr3
	s_cbranch_execz .LBB9_20
; %bb.15:
	s_ashr_i32 s16, s31, 4
	v_cmp_gt_i32_e32 vcc, s16, v0
	v_mov_b32_e32 v3, 0xff7fffff
	v_mov_b32_e32 v2, 0x7f7fffff
	s_and_saveexec_b64 s[2:3], vcc
	s_cbranch_execz .LBB9_19
; %bb.16:
	s_add_u32 s14, s8, s10
	v_lshlrev_b32_e32 v1, 5, v0
	s_addc_u32 s15, s9, s11
	s_mov_b32 s18, 0
	v_mov_b32_e32 v2, s15
	v_add_co_u32_e32 v4, vcc, s14, v1
	v_addc_co_u32_e32 v5, vcc, 0, v2, vcc
	s_lshl_b32 s17, s28, 5
	s_mov_b64 s[14:15], 0
	v_mov_b32_e32 v3, 0xff7fffff
	v_mov_b32_e32 v2, 0x7f7fffff
	;; [unrolled: 1-line block ×4, first 2 shown]
.LBB9_17:                               ; =>This Inner Loop Header: Depth=1
	global_load_dwordx4 v[8:11], v[4:5], off
	global_load_dwordx4 v[12:15], v[4:5], off offset:16
	v_add_co_u32_e32 v4, vcc, s17, v4
	v_add_u32_e32 v6, s28, v6
	v_addc_co_u32_e32 v5, vcc, v5, v1, vcc
	v_cmp_le_i32_e32 vcc, s16, v6
	s_or_b64 s[14:15], vcc, s[14:15]
	s_waitcnt vmcnt(1)
	v_cvt_f32_f16_e32 v7, v8
	v_cvt_f32_f16_sdwa v8, v8 dst_sel:DWORD dst_unused:UNUSED_PAD src0_sel:WORD_1
	v_cvt_f32_f16_e32 v16, v9
	v_cvt_f32_f16_sdwa v9, v9 dst_sel:DWORD dst_unused:UNUSED_PAD src0_sel:WORD_1
	;; [unrolled: 2-line block ×4, first 2 shown]
	s_waitcnt vmcnt(0)
	v_cvt_f32_f16_e32 v19, v12
	v_cvt_f32_f16_sdwa v12, v12 dst_sel:DWORD dst_unused:UNUSED_PAD src0_sel:WORD_1
	v_min3_f32 v2, v2, v7, v8
	v_max3_f32 v3, v3, v7, v8
	v_cvt_f32_f16_e32 v20, v13
	v_cvt_f32_f16_sdwa v13, v13 dst_sel:DWORD dst_unused:UNUSED_PAD src0_sel:WORD_1
	v_min3_f32 v2, v2, v16, v9
	v_max3_f32 v3, v3, v16, v9
	;; [unrolled: 4-line block ×4, first 2 shown]
	v_min3_f32 v2, v2, v19, v12
	v_max3_f32 v3, v3, v19, v12
	v_min3_f32 v2, v2, v20, v13
	v_max3_f32 v3, v3, v20, v13
	;; [unrolled: 2-line block ×4, first 2 shown]
	s_andn2_b64 exec, exec, s[14:15]
	s_cbranch_execnz .LBB9_17
; %bb.18:
	s_or_b64 exec, exec, s[14:15]
.LBB9_19:
	s_or_b64 exec, exec, s[2:3]
.LBB9_20:
	v_mbcnt_lo_u32_b32 v1, -1, 0
	v_mbcnt_hi_u32_b32 v1, -1, v1
	v_and_b32_e32 v4, 63, v1
	v_cmp_ne_u32_e32 vcc, 63, v4
	v_addc_co_u32_e32 v5, vcc, 0, v1, vcc
	v_lshlrev_b32_e32 v5, 2, v5
	ds_bpermute_b32 v7, v5, v2
	ds_bpermute_b32 v6, v5, v3
	v_and_b32_e32 v5, 0x3c0, v0
	v_sub_u32_e64 v5, s28, v5 clamp
	v_add_u32_e32 v8, 1, v1
	v_cmp_lt_u32_e32 vcc, v8, v5
	s_and_saveexec_b64 s[2:3], vcc
	s_cbranch_execz .LBB9_22
; %bb.21:
	s_waitcnt lgkmcnt(1)
	v_max_f32_e32 v7, v7, v7
	v_max_f32_e32 v2, v2, v2
	s_waitcnt lgkmcnt(0)
	v_max_f32_e32 v6, v6, v6
	v_max_f32_e32 v3, v3, v3
	v_min_f32_e32 v2, v2, v7
	v_max_f32_e32 v3, v3, v6
.LBB9_22:
	s_or_b64 exec, exec, s[2:3]
	v_cmp_gt_u32_e32 vcc, 62, v4
	s_waitcnt lgkmcnt(0)
	v_cndmask_b32_e64 v6, 0, 1, vcc
	v_lshlrev_b32_e32 v6, 1, v6
	v_add_lshl_u32 v6, v6, v1, 2
	ds_bpermute_b32 v7, v6, v2
	ds_bpermute_b32 v6, v6, v3
	v_add_u32_e32 v8, 2, v1
	v_cmp_lt_u32_e32 vcc, v8, v5
	s_and_saveexec_b64 s[2:3], vcc
	s_cbranch_execz .LBB9_24
; %bb.23:
	s_waitcnt lgkmcnt(1)
	v_max_f32_e32 v7, v7, v7
	v_max_f32_e32 v2, v2, v2
	s_waitcnt lgkmcnt(0)
	v_max_f32_e32 v6, v6, v6
	v_max_f32_e32 v3, v3, v3
	v_min_f32_e32 v2, v2, v7
	v_max_f32_e32 v3, v3, v6
.LBB9_24:
	s_or_b64 exec, exec, s[2:3]
	v_cmp_gt_u32_e32 vcc, 60, v4
	s_waitcnt lgkmcnt(0)
	v_cndmask_b32_e64 v6, 0, 1, vcc
	v_lshlrev_b32_e32 v6, 2, v6
	v_add_lshl_u32 v6, v6, v1, 2
	ds_bpermute_b32 v7, v6, v2
	ds_bpermute_b32 v6, v6, v3
	;; [unrolled: 22-line block ×4, first 2 shown]
	v_add_u32_e32 v8, 16, v1
	v_cmp_lt_u32_e32 vcc, v8, v5
	s_and_saveexec_b64 s[2:3], vcc
	s_cbranch_execz .LBB9_30
; %bb.29:
	s_waitcnt lgkmcnt(1)
	v_max_f32_e32 v7, v7, v7
	v_max_f32_e32 v2, v2, v2
	s_waitcnt lgkmcnt(0)
	v_max_f32_e32 v6, v6, v6
	v_max_f32_e32 v3, v3, v3
	v_min_f32_e32 v2, v2, v7
	v_max_f32_e32 v3, v3, v6
.LBB9_30:
	s_or_b64 exec, exec, s[2:3]
	v_cmp_gt_u32_e32 vcc, 32, v4
	v_cndmask_b32_e64 v4, 0, 1, vcc
	v_lshlrev_b32_e32 v4, 5, v4
	v_add_lshl_u32 v4, v4, v1, 2
	s_waitcnt lgkmcnt(0)
	ds_bpermute_b32 v6, v4, v2
	ds_bpermute_b32 v4, v4, v3
	v_add_u32_e32 v7, 32, v1
	v_cmp_lt_u32_e32 vcc, v7, v5
	s_and_saveexec_b64 s[2:3], vcc
	s_cbranch_execz .LBB9_32
; %bb.31:
	s_waitcnt lgkmcnt(1)
	v_max_f32_e32 v5, v6, v6
	v_max_f32_e32 v2, v2, v2
	s_waitcnt lgkmcnt(0)
	v_max_f32_e32 v4, v4, v4
	v_max_f32_e32 v3, v3, v3
	v_min_f32_e32 v2, v2, v5
	v_max_f32_e32 v3, v3, v4
.LBB9_32:
	s_or_b64 exec, exec, s[2:3]
	v_cmp_eq_u32_e32 vcc, 0, v1
	s_and_saveexec_b64 s[2:3], vcc
	s_cbranch_execz .LBB9_34
; %bb.33:
	s_waitcnt lgkmcnt(0)
	v_lshrrev_b32_e32 v4, 3, v0
	v_and_b32_e32 v4, 0x78, v4
	ds_write2_b32 v4, v2, v3 offset1:1
.LBB9_34:
	s_or_b64 exec, exec, s[2:3]
	s_load_dwordx2 s[14:15], s[4:5], 0x8
	v_cmp_gt_u32_e32 vcc, 4, v0
	s_waitcnt lgkmcnt(0)
	s_barrier
	s_and_saveexec_b64 s[2:3], vcc
	s_cbranch_execz .LBB9_42
; %bb.35:
	v_lshlrev_b32_e32 v2, 3, v1
	ds_read2_b32 v[2:3], v2 offset1:1
	v_and_b32_e32 v4, 3, v1
	v_cmp_ne_u32_e32 vcc, 3, v4
	v_addc_co_u32_e32 v5, vcc, 0, v1, vcc
	v_lshlrev_b32_e32 v6, 2, v5
	s_waitcnt lgkmcnt(0)
	ds_bpermute_b32 v5, v6, v2
	ds_bpermute_b32 v6, v6, v3
	s_add_i32 s16, s28, 63
	s_lshr_b32 s18, s16, 6
	v_add_u32_e32 v7, 1, v4
	v_cmp_le_u32_e32 vcc, s18, v7
	s_and_saveexec_b64 s[16:17], vcc
	s_xor_b64 s[16:17], exec, s[16:17]
; %bb.36:
                                        ; implicit-def: $vgpr5
                                        ; implicit-def: $vgpr6
; %bb.37:
	s_andn2_saveexec_b64 s[16:17], s[16:17]
	s_cbranch_execz .LBB9_39
; %bb.38:
	s_waitcnt lgkmcnt(1)
	v_max_f32_e32 v5, v5, v5
	v_max_f32_e32 v2, v2, v2
	v_min_f32_e32 v2, v2, v5
	s_waitcnt lgkmcnt(0)
	v_max_f32_e32 v5, v6, v6
	v_max_f32_e32 v3, v3, v3
	;; [unrolled: 1-line block ×3, first 2 shown]
.LBB9_39:
	s_or_b64 exec, exec, s[16:17]
	v_cmp_gt_u32_e32 vcc, 2, v4
	s_waitcnt lgkmcnt(1)
	v_cndmask_b32_e64 v5, 0, 1, vcc
	v_lshlrev_b32_e32 v5, 1, v5
	v_add_lshl_u32 v1, v5, v1, 2
	ds_bpermute_b32 v5, v1, v2
	ds_bpermute_b32 v1, v1, v3
	v_add_u32_e32 v4, 2, v4
	v_cmp_gt_u32_e32 vcc, s18, v4
	s_and_saveexec_b64 s[16:17], vcc
	s_cbranch_execz .LBB9_41
; %bb.40:
	s_waitcnt lgkmcnt(1)
	v_max_f32_e32 v4, v5, v5
	v_max_f32_e32 v2, v2, v2
	s_waitcnt lgkmcnt(0)
	v_max_f32_e32 v1, v1, v1
	v_max_f32_e32 v3, v3, v3
	v_min_f32_e32 v2, v2, v4
	v_max_f32_e32 v3, v3, v1
.LBB9_41:
	s_or_b64 exec, exec, s[16:17]
.LBB9_42:
	s_or_b64 exec, exec, s[2:3]
	v_cmp_eq_u32_e32 vcc, 0, v0
	s_and_saveexec_b64 s[2:3], vcc
	s_cbranch_execz .LBB9_44
; %bb.43:
	s_waitcnt lgkmcnt(0)
	v_sub_f32_e32 v1, v3, v2
	s_mov_b32 s18, 0x437f0000
	v_div_scale_f32 v3, s[16:17], s18, s18, v1
	v_rcp_f32_e32 v4, v3
	v_fma_f32 v5, -v3, v4, 1.0
	v_fmac_f32_e32 v4, v5, v4
	v_div_scale_f32 v5, vcc, v1, s18, v1
	v_mul_f32_e32 v6, v5, v4
	v_fma_f32 v7, -v3, v6, v5
	v_fmac_f32_e32 v6, v7, v4
	v_fma_f32 v3, -v3, v6, v5
	v_div_fmas_f32 v3, v3, v4, v6
	v_div_fixup_f32 v3, v3, s18, v1
	v_div_scale_f32 v1, s[16:17], v3, v3, v2
	v_rcp_f32_e32 v4, v1
	s_load_dwordx4 s[16:19], s[4:5], 0x10
	s_lshl_b64 s[4:5], s[6:7], 2
	v_fma_f32 v5, -v1, v4, 1.0
	v_fmac_f32_e32 v4, v5, v4
	v_div_scale_f32 v5, vcc, v2, v3, v2
	v_mul_f32_e32 v6, v5, v4
	v_fma_f32 v7, -v1, v6, v5
	v_fmac_f32_e32 v6, v7, v4
	v_fma_f32 v1, -v1, v6, v5
	v_div_fmas_f32 v1, v1, v4, v6
	v_div_fixup_f32 v1, v1, v3, v2
	v_sub_f32_e32 v1, 0xc3000000, v1
	v_rndne_f32_e32 v1, v1
	v_cvt_i32_f32_e32 v2, v1
	s_waitcnt lgkmcnt(0)
	s_add_u32 s6, s16, s4
	s_addc_u32 s7, s17, s5
	s_add_u32 s4, s18, s4
	v_mov_b32_e32 v1, 0
	s_addc_u32 s5, s19, s5
	ds_write_b64 v1, v[2:3] offset:32
	global_store_dword v1, v3, s[6:7]
	global_store_dword v1, v2, s[4:5]
.LBB9_44:
	s_or_b64 exec, exec, s[2:3]
	s_waitcnt lgkmcnt(0)
	v_mov_b32_e32 v1, 0
	s_barrier
	ds_read_b64 v[38:39], v1 offset:32
	s_add_u32 s16, s14, s12
	s_addc_u32 s17, s15, s13
	s_waitcnt lgkmcnt(0)
	v_div_scale_f32 v1, s[2:3], v39, v39, 1.0
	v_rcp_f32_e32 v2, v1
	s_mov_b64 s[2:3], -1
	v_fma_f32 v3, -v1, v2, 1.0
	v_fmac_f32_e32 v2, v3, v2
	v_div_scale_f32 v3, vcc, 1.0, v39, 1.0
	v_mul_f32_e32 v4, v3, v2
	v_fma_f32 v5, -v1, v4, v3
	v_fmac_f32_e32 v4, v5, v2
	v_fma_f32 v1, -v1, v4, v3
	v_div_fmas_f32 v1, v1, v2, v4
	v_div_fixup_f32 v40, v1, v39, 1.0
	s_and_b64 vcc, exec, s[0:1]
	s_cbranch_vccz .LBB9_142
; %bb.45:
	s_sub_i32 s0, 0, s29
	s_bfe_u32 s0, s0, 0x40001
	s_min_i32 s18, s0, s31
	v_cmp_gt_i32_e32 vcc, s18, v0
	s_and_saveexec_b64 s[2:3], vcc
	s_cbranch_execz .LBB9_57
; %bb.46:
	v_cvt_f32_u32_e32 v1, s28
	v_add_u32_e32 v2, s28, v0
	v_mov_b32_e32 v3, s28
	s_sub_i32 s4, 0, s28
	v_rcp_iflag_f32_e32 v1, v1
	v_cmp_gt_i32_e32 vcc, s18, v2
	v_max_i32_e32 v4, s18, v2
	v_addc_co_u32_e64 v2, s[0:1], v0, v3, vcc
	v_mul_f32_e32 v1, 0x4f7ffffe, v1
	v_cvt_u32_f32_e32 v1, v1
	v_sub_u32_e32 v2, v4, v2
	s_cmp_eq_u32 s28, 1
	v_mul_lo_u32 v3, s4, v1
	v_mul_hi_u32 v3, v1, v3
	v_add_u32_e32 v1, v1, v3
	v_mul_hi_u32 v1, v2, v1
	v_mul_lo_u32 v3, v1, s28
	v_sub_u32_e32 v2, v2, v3
	v_add_u32_e32 v4, 1, v1
	v_cmp_le_u32_e64 s[0:1], s28, v2
	v_subrev_u32_e32 v3, s28, v2
	v_cndmask_b32_e64 v1, v1, v4, s[0:1]
	v_cndmask_b32_e64 v2, v2, v3, s[0:1]
	v_add_u32_e32 v3, 1, v1
	v_cmp_le_u32_e64 s[0:1], s28, v2
	v_cndmask_b32_e64 v1, v1, v3, s[0:1]
	v_addc_co_u32_e32 v1, vcc, 1, v1, vcc
	v_cmp_lt_u32_e32 vcc, 3, v1
	s_cselect_b64 s[0:1], -1, 0
	s_and_b64 s[6:7], vcc, s[0:1]
	s_mov_b64 s[4:5], -1
	v_mov_b32_e32 v2, v0
	s_and_saveexec_b64 s[0:1], s[6:7]
	s_cbranch_execz .LBB9_50
; %bb.47:
	v_and_b32_e32 v6, -4, v1
	v_mov_b32_e32 v41, v40
	s_mov_b64 s[4:5], 0
	v_mov_b32_e32 v3, 0
	v_mov_b32_e32 v7, s30
	;; [unrolled: 1-line block ×4, first 2 shown]
	s_mov_b32 s6, 0x4f000000
	s_mov_b32 s7, 0xcf000000
	v_mov_b32_e32 v8, 0xcf000000
	v_bfrev_b32_e32 v9, -2
	s_movk_i32 s19, 0xff80
	v_mov_b32_e32 v10, 0x7f
	v_mov_b32_e32 v2, v0
	;; [unrolled: 1-line block ×3, first 2 shown]
.LBB9_48:                               ; =>This Inner Loop Header: Depth=1
	v_lshlrev_b64 v[12:13], 1, v[2:3]
	v_add_co_u32_e32 v12, vcc, s29, v12
	v_addc_co_u32_e32 v13, vcc, v7, v13, vcc
	global_load_dwordx2 v[12:13], v[12:13], off
	v_add_u32_e32 v11, -4, v11
	v_cmp_eq_u32_e32 vcc, 0, v11
	s_or_b64 s[4:5], vcc, s[4:5]
	s_waitcnt vmcnt(0)
	v_cvt_f32_f16_e32 v14, v13
	v_cvt_f32_f16_sdwa v15, v13 dst_sel:DWORD dst_unused:UNUSED_PAD src0_sel:WORD_1
	v_cvt_f32_f16_e32 v16, v12
	v_cvt_f32_f16_sdwa v17, v12 dst_sel:DWORD dst_unused:UNUSED_PAD src0_sel:WORD_1
	v_pk_mul_f32 v[14:15], v[4:5], v[14:15]
	v_rndne_f32_e32 v14, v14
	v_pk_mul_f32 v[12:13], v[40:41], v[16:17]
	v_rndne_f32_e32 v15, v15
	v_cmp_nge_f32_e32 vcc, s7, v14
	v_rndne_f32_e32 v12, v12
	v_cndmask_b32_e32 v16, v8, v14, vcc
	v_cmp_nge_f32_e32 vcc, s7, v15
	v_rndne_f32_e32 v13, v13
	v_cndmask_b32_e32 v17, v8, v15, vcc
	v_cmp_nge_f32_e32 vcc, s7, v12
	v_cvt_i32_f32_e32 v16, v16
	v_cndmask_b32_e32 v18, v8, v12, vcc
	v_cmp_nge_f32_e32 vcc, s7, v13
	v_cvt_i32_f32_e32 v17, v17
	v_cndmask_b32_e32 v19, v8, v13, vcc
	v_cvt_i32_f32_e32 v18, v18
	v_cvt_i32_f32_e32 v19, v19
	v_cmp_nle_f32_e32 vcc, s6, v14
	v_cndmask_b32_e32 v14, v9, v16, vcc
	v_cmp_nle_f32_e32 vcc, s6, v15
	v_cndmask_b32_e32 v15, v9, v17, vcc
	v_cmp_nle_f32_e32 vcc, s6, v12
	v_cndmask_b32_e32 v12, v9, v18, vcc
	v_cmp_nle_f32_e32 vcc, s6, v13
	v_cndmask_b32_e32 v13, v9, v19, vcc
	v_add_u32_e32 v13, v13, v38
	v_add_u32_e32 v15, v15, v38
	v_add_u32_e32 v12, v12, v38
	v_add_u32_e32 v14, v14, v38
	v_med3_i32 v15, v15, s19, v10
	v_med3_i32 v13, v13, s19, v10
	;; [unrolled: 1-line block ×4, first 2 shown]
	v_lshlrev_b16_e32 v13, 8, v13
	v_lshlrev_b16_e32 v15, 8, v15
	v_or_b32_sdwa v12, v12, v13 dst_sel:DWORD dst_unused:UNUSED_PAD src0_sel:BYTE_0 src1_sel:DWORD
	v_or_b32_sdwa v13, v14, v15 dst_sel:WORD_1 dst_unused:UNUSED_PAD src0_sel:BYTE_0 src1_sel:DWORD
	v_or_b32_sdwa v12, v12, v13 dst_sel:DWORD dst_unused:UNUSED_PAD src0_sel:WORD_0 src1_sel:DWORD
	global_store_dword v2, v12, s[16:17]
	v_add_u32_e32 v2, 4, v2
	s_andn2_b64 exec, exec, s[4:5]
	s_cbranch_execnz .LBB9_48
; %bb.49:
	s_or_b64 exec, exec, s[4:5]
	v_cmp_ne_u32_e32 vcc, v1, v6
	v_add_u32_e32 v2, v0, v6
	s_orn2_b64 s[4:5], vcc, exec
.LBB9_50:
	s_or_b64 exec, exec, s[0:1]
	s_and_b64 exec, exec, s[4:5]
	s_cbranch_execz .LBB9_57
; %bb.51:
	s_add_u32 s0, s14, s12
	s_addc_u32 s1, s15, s13
	v_mov_b32_e32 v3, 0
	v_mov_b32_e32 v4, s1
	v_add_co_u32_e32 v1, vcc, s0, v2
	s_add_u32 s0, s8, s10
	v_addc_co_u32_e32 v6, vcc, 0, v4, vcc
	v_lshlrev_b64 v[4:5], 1, v[2:3]
	s_addc_u32 s1, s9, s11
	s_mov_b32 s4, 0
	v_mov_b32_e32 v3, s1
	v_add_co_u32_e32 v4, vcc, s0, v4
	v_addc_co_u32_e32 v5, vcc, v3, v5, vcc
	s_lshl_b32 s19, s28, 1
	s_mov_b64 s[0:1], 0
	s_mov_b32 s22, 0x4f000000
	s_mov_b32 s23, 0xcf000000
	s_movk_i32 s24, 0xff80
	v_mov_b32_e32 v3, 0x7f
	v_mov_b32_e32 v7, s4
	s_mov_b64 s[4:5], 0
	s_branch .LBB9_54
.LBB9_52:                               ;   in Loop: Header=BB9_54 Depth=1
	s_or_b64 exec, exec, s[20:21]
.LBB9_53:                               ;   in Loop: Header=BB9_54 Depth=1
	s_or_b64 exec, exec, s[6:7]
	v_mov_b32_e32 v9, s5
	v_add_co_u32_e32 v10, vcc, s4, v1
	v_add_u32_e32 v8, v8, v38
	v_addc_co_u32_e32 v11, vcc, v6, v9, vcc
	v_med3_i32 v8, v8, s24, v3
	s_add_u32 s4, s4, s28
	global_store_byte v[10:11], v8, off
	v_add_u32_e32 v8, s4, v2
	s_addc_u32 s5, s5, 0
	v_cmp_le_i32_e32 vcc, s18, v8
	s_or_b64 s[0:1], vcc, s[0:1]
	v_add_co_u32_e32 v4, vcc, s19, v4
	v_addc_co_u32_e32 v5, vcc, v5, v7, vcc
	s_andn2_b64 exec, exec, s[0:1]
	s_cbranch_execz .LBB9_57
.LBB9_54:                               ; =>This Inner Loop Header: Depth=1
	global_load_ushort v8, v[4:5], off
	s_waitcnt vmcnt(0)
	v_cvt_f32_f16_e32 v8, v8
	v_mul_f32_e32 v8, v40, v8
	v_rndne_f32_e32 v9, v8
	v_cmp_nle_f32_e32 vcc, s22, v9
	v_bfrev_b32_e32 v8, -2
	s_and_saveexec_b64 s[6:7], vcc
	s_cbranch_execz .LBB9_53
; %bb.55:                               ;   in Loop: Header=BB9_54 Depth=1
	v_cmp_nge_f32_e32 vcc, s23, v9
	v_bfrev_b32_e32 v8, 1
	s_and_saveexec_b64 s[20:21], vcc
	s_cbranch_execz .LBB9_52
; %bb.56:                               ;   in Loop: Header=BB9_54 Depth=1
	v_cvt_i32_f32_e32 v8, v9
	s_branch .LBB9_52
.LBB9_57:
	s_or_b64 exec, exec, s[2:3]
	s_ashr_i32 s19, s18, 31
	s_lshl_b64 s[20:21], s[18:19], 1
	s_add_u32 s34, s29, s20
	s_addc_u32 s36, s30, s21
	s_add_u32 s35, s16, s18
	s_addc_u32 s37, s17, s19
	s_sub_i32 s33, s31, s18
	s_ashr_i32 s0, s33, 31
	s_lshr_b32 s0, s0, 28
	s_add_i32 s0, s33, s0
	s_ashr_i32 s38, s0, 4
	v_cmp_gt_i32_e32 vcc, s38, v0
	s_and_saveexec_b64 s[22:23], vcc
	s_cbranch_execz .LBB9_129
; %bb.58:
	v_cvt_f32_u32_e32 v1, s28
	v_add_u32_e32 v2, s28, v0
	v_mov_b32_e32 v3, s28
	s_sub_i32 s2, 0, s28
	v_rcp_iflag_f32_e32 v1, v1
	v_cmp_gt_i32_e32 vcc, s38, v2
	v_max_i32_e32 v4, s38, v2
	v_addc_co_u32_e64 v2, s[0:1], v0, v3, vcc
	v_mul_f32_e32 v1, 0x4f7ffffe, v1
	v_cvt_u32_f32_e32 v1, v1
	v_sub_u32_e32 v2, v4, v2
	s_cmp_eq_u32 s28, 1
	v_mov_b32_e32 v10, v0
	v_mul_lo_u32 v3, s2, v1
	v_mul_hi_u32 v3, v1, v3
	v_add_u32_e32 v1, v1, v3
	v_mul_hi_u32 v1, v2, v1
	v_mul_lo_u32 v3, v1, s28
	v_sub_u32_e32 v2, v2, v3
	v_add_u32_e32 v4, 1, v1
	v_cmp_le_u32_e64 s[0:1], s28, v2
	v_subrev_u32_e32 v3, s28, v2
	v_cndmask_b32_e64 v1, v1, v4, s[0:1]
	v_cndmask_b32_e64 v2, v2, v3, s[0:1]
	v_add_u32_e32 v3, 1, v1
	v_cmp_le_u32_e64 s[0:1], s28, v2
	v_cndmask_b32_e64 v1, v1, v3, s[0:1]
	v_addc_co_u32_e32 v39, vcc, 1, v1, vcc
	v_cmp_lt_u32_e32 vcc, 3, v39
	s_cselect_b64 s[0:1], -1, 0
	s_and_b64 s[2:3], vcc, s[0:1]
	s_mov_b64 s[0:1], -1
	s_and_saveexec_b64 s[24:25], s[2:3]
	s_cbranch_execz .LBB9_62
; %bb.59:
	v_add_u32_e32 v3, 3, v0
	v_add_u32_e32 v2, 2, v0
	v_and_b32_e32 v52, -4, v39
	v_add_u32_e32 v1, 1, v0
	v_pk_mov_b32 v[4:5], v[2:3], v[2:3] op_sel:[0,1]
	v_mov_b32_e32 v41, v40
	s_mov_b64 s[26:27], 0
	v_mov_b32_e32 v53, s36
	v_mov_b32_e32 v42, v40
	;; [unrolled: 1-line block ×3, first 2 shown]
	s_mov_b32 s39, 0x4f000000
	s_mov_b32 s40, 0xcf000000
	v_mov_b32_e32 v54, 0xcf000000
	v_bfrev_b32_e32 v55, -2
	s_movk_i32 s41, 0xff80
	v_mov_b32_e32 v56, 0x7f
	v_mov_b32_e32 v57, s37
	;; [unrolled: 1-line block ×4, first 2 shown]
	v_pk_mov_b32 v[2:3], v[0:1], v[0:1] op_sel:[0,1]
.LBB9_60:                               ; =>This Inner Loop Header: Depth=1
	v_mov_b32_e32 v44, v2
	v_lshlrev_b64 v[6:7], 5, v[44:45]
	v_add_co_u32_e32 v18, vcc, s34, v6
	v_mov_b32_e32 v46, v3
	v_mov_b32_e32 v47, v45
	v_addc_co_u32_e32 v19, vcc, v53, v7, vcc
	v_lshlrev_b64 v[6:7], 5, v[46:47]
	v_add_co_u32_e32 v20, vcc, s34, v6
	v_mov_b32_e32 v48, v4
	v_mov_b32_e32 v49, v45
	v_addc_co_u32_e32 v21, vcc, v53, v7, vcc
	v_lshlrev_b64 v[6:7], 5, v[48:49]
	v_add_co_u32_e32 v60, vcc, s34, v6
	v_mov_b32_e32 v50, v5
	v_mov_b32_e32 v51, v45
	v_addc_co_u32_e32 v61, vcc, v53, v7, vcc
	v_lshlrev_b64 v[6:7], 5, v[50:51]
	v_add_co_u32_e32 v62, vcc, s34, v6
	v_addc_co_u32_e32 v63, vcc, v53, v7, vcc
	global_load_dwordx4 v[22:25], v[18:19], off
	global_load_dwordx4 v[26:29], v[20:21], off
	;; [unrolled: 1-line block ×4, first 2 shown]
	global_load_dwordx4 v[6:9], v[18:19], off offset:16
	global_load_dwordx4 v[10:13], v[20:21], off offset:16
	;; [unrolled: 1-line block ×3, first 2 shown]
                                        ; kill: killed $vgpr18 killed $vgpr19
                                        ; kill: killed $vgpr60 killed $vgpr61
                                        ; kill: killed $vgpr20 killed $vgpr21
	s_nop 0
	global_load_dwordx4 v[18:21], v[62:63], off offset:16
	v_lshlrev_b64 v[46:47], 4, v[46:47]
	v_lshlrev_b64 v[48:49], 4, v[48:49]
	;; [unrolled: 1-line block ×3, first 2 shown]
	v_add_u32_e32 v58, -4, v58
	v_add_u32_e32 v5, 4, v5
	v_add_u32_e32 v4, 4, v4
	;; [unrolled: 1-line block ×4, first 2 shown]
	s_waitcnt vmcnt(7)
	v_cvt_f32_f16_e32 v62, v22
	s_waitcnt vmcnt(6)
	v_cvt_f32_f16_e32 v63, v26
	;; [unrolled: 2-line block ×4, first 2 shown]
	v_cvt_f32_f16_sdwa v65, v27 dst_sel:DWORD dst_unused:UNUSED_PAD src0_sel:WORD_1
	v_pk_mul_f32 v[62:63], v[40:41], v[62:63]
	v_cvt_f32_f16_sdwa v67, v29 dst_sel:DWORD dst_unused:UNUSED_PAD src0_sel:WORD_1
	v_pk_mul_f32 v[60:61], v[42:43], v[60:61]
	v_rndne_f32_e32 v1, v60
	v_rndne_f32_e32 v59, v61
	v_cmp_nge_f32_e64 s[6:7], s40, v1
	v_rndne_f32_e32 v60, v62
	v_cmp_nle_f32_e64 s[4:5], s39, v1
	v_cndmask_b32_e64 v1, v54, v1, s[6:7]
	v_cmp_nge_f32_e64 s[6:7], s40, v59
	v_rndne_f32_e32 v61, v63
	v_cmp_nle_f32_e64 s[2:3], s39, v59
	v_cndmask_b32_e64 v59, v54, v59, s[6:7]
	v_cmp_nge_f32_e64 s[6:7], s40, v60
	v_cmp_nle_f32_e64 s[0:1], s39, v60
	v_cndmask_b32_e64 v60, v54, v60, s[6:7]
	v_cmp_nge_f32_e64 s[6:7], s40, v61
	v_cmp_nle_f32_e32 vcc, s39, v61
	v_cndmask_b32_e64 v61, v54, v61, s[6:7]
	v_cvt_i32_f32_e32 v61, v61
	v_cvt_i32_f32_e32 v60, v60
	;; [unrolled: 1-line block ×3, first 2 shown]
	v_cvt_f32_f16_sdwa v63, v26 dst_sel:DWORD dst_unused:UNUSED_PAD src0_sel:WORD_1
	v_cndmask_b32_e32 v61, v55, v61, vcc
	v_cndmask_b32_e64 v60, v55, v60, s[0:1]
	v_cndmask_b32_e64 v59, v55, v59, s[2:3]
	v_add_u32_e32 v61, v61, v38
	v_add_u32_e32 v60, v60, v38
	v_add_u32_e32 v59, v59, v38
	v_med3_i32 v64, v59, s41, v56
	v_med3_i32 v59, v60, s41, v56
	;; [unrolled: 1-line block ×3, first 2 shown]
	v_lshlrev_b16_e32 v60, 8, v60
	v_or_b32_sdwa v59, v59, v60 dst_sel:DWORD dst_unused:UNUSED_PAD src0_sel:BYTE_0 src1_sel:DWORD
	v_cvt_f32_f16_sdwa v61, v34 dst_sel:DWORD dst_unused:UNUSED_PAD src0_sel:WORD_1
	v_cvt_f32_f16_sdwa v60, v30 dst_sel:DWORD dst_unused:UNUSED_PAD src0_sel:WORD_1
	v_cvt_f32_f16_sdwa v62, v22 dst_sel:DWORD dst_unused:UNUSED_PAD src0_sel:WORD_1
	v_cvt_i32_f32_e32 v1, v1
	s_waitcnt vmcnt(2)
	v_cvt_f32_f16_sdwa v69, v11 dst_sel:DWORD dst_unused:UNUSED_PAD src0_sel:WORD_1
	v_pk_mul_f32 v[60:61], v[42:43], v[60:61]
	v_pk_mul_f32 v[62:63], v[40:41], v[62:63]
	v_rndne_f32_e32 v22, v60
	v_rndne_f32_e32 v26, v62
	v_cmp_nge_f32_e64 s[6:7], s40, v22
	v_cndmask_b32_e64 v1, v55, v1, s[4:5]
	v_rndne_f32_e32 v30, v63
	v_cmp_nle_f32_e64 s[4:5], s39, v22
	v_cndmask_b32_e64 v22, v54, v22, s[6:7]
	v_cmp_nge_f32_e64 s[6:7], s40, v26
	v_cmp_nle_f32_e64 s[2:3], s39, v26
	v_cndmask_b32_e64 v26, v54, v26, s[6:7]
	v_cmp_nge_f32_e64 s[6:7], s40, v30
	v_cmp_nle_f32_e64 s[0:1], s39, v30
	v_cndmask_b32_e64 v30, v54, v30, s[6:7]
	v_cvt_i32_f32_e32 v30, v30
	v_cvt_i32_f32_e32 v26, v26
	v_rndne_f32_e32 v34, v61
	v_cmp_nge_f32_e64 s[6:7], s40, v34
	v_cndmask_b32_e64 v30, v55, v30, s[0:1]
	v_cndmask_b32_e64 v26, v55, v26, s[2:3]
	v_add_u32_e32 v30, v30, v38
	v_cmp_nle_f32_e32 vcc, s39, v34
	v_cndmask_b32_e64 v34, v54, v34, s[6:7]
	v_add_u32_e32 v60, v26, v38
	v_med3_i32 v30, v30, s41, v56
	v_cvt_i32_f32_e32 v34, v34
	v_cvt_i32_f32_e32 v22, v22
	v_med3_i32 v60, v60, s41, v56
	v_lshlrev_b16_e32 v30, 8, v30
	v_or_b32_sdwa v30, v60, v30 dst_sel:DWORD dst_unused:UNUSED_PAD src0_sel:BYTE_0 src1_sel:DWORD
	v_cvt_f32_f16_e32 v61, v35
	v_cvt_f32_f16_e32 v60, v31
	;; [unrolled: 1-line block ×4, first 2 shown]
	v_cndmask_b32_e64 v22, v55, v22, s[4:5]
	v_cndmask_b32_e32 v34, v55, v34, vcc
	v_add_u32_e32 v34, v34, v38
	v_add_u32_e32 v22, v22, v38
	v_pk_mul_f32 v[60:61], v[42:43], v[60:61]
	v_med3_i32 v26, v22, s41, v56
	v_med3_i32 v22, v34, s41, v56
	v_rndne_f32_e32 v34, v60
	v_pk_mul_f32 v[62:63], v[40:41], v[62:63]
	v_rndne_f32_e32 v60, v61
	v_cmp_nge_f32_e64 s[6:7], s40, v34
	v_rndne_f32_e32 v61, v62
	v_cmp_nle_f32_e64 s[4:5], s39, v34
	v_cndmask_b32_e64 v34, v54, v34, s[6:7]
	v_cmp_nge_f32_e64 s[6:7], s40, v60
	v_rndne_f32_e32 v62, v63
	v_cmp_nle_f32_e64 s[2:3], s39, v60
	v_cndmask_b32_e64 v60, v54, v60, s[6:7]
	v_cmp_nge_f32_e64 s[6:7], s40, v61
	v_cmp_nle_f32_e64 s[0:1], s39, v61
	v_cndmask_b32_e64 v61, v54, v61, s[6:7]
	v_cmp_nge_f32_e64 s[6:7], s40, v62
	v_cmp_nle_f32_e32 vcc, s39, v62
	v_cndmask_b32_e64 v62, v54, v62, s[6:7]
	v_cvt_i32_f32_e32 v62, v62
	v_cvt_i32_f32_e32 v61, v61
	;; [unrolled: 1-line block ×3, first 2 shown]
	v_lshlrev_b16_e32 v22, 8, v22
	v_cndmask_b32_e32 v62, v55, v62, vcc
	v_cndmask_b32_e64 v61, v55, v61, s[0:1]
	v_cndmask_b32_e64 v60, v55, v60, s[2:3]
	v_add_u32_e32 v62, v62, v38
	v_add_u32_e32 v61, v61, v38
	;; [unrolled: 1-line block ×3, first 2 shown]
	v_med3_i32 v66, v60, s41, v56
	v_med3_i32 v60, v61, s41, v56
	;; [unrolled: 1-line block ×3, first 2 shown]
	v_cvt_f32_f16_sdwa v63, v35 dst_sel:DWORD dst_unused:UNUSED_PAD src0_sel:WORD_1
	v_cvt_f32_f16_sdwa v62, v31 dst_sel:DWORD dst_unused:UNUSED_PAD src0_sel:WORD_1
	v_or_b32_sdwa v22, v64, v22 dst_sel:DWORD dst_unused:UNUSED_PAD src0_sel:BYTE_0 src1_sel:DWORD
	v_cvt_f32_f16_sdwa v64, v23 dst_sel:DWORD dst_unused:UNUSED_PAD src0_sel:WORD_1
	v_cvt_i32_f32_e32 v34, v34
	v_pk_mul_f32 v[62:63], v[42:43], v[62:63]
	v_rndne_f32_e32 v23, v62
	v_pk_mul_f32 v[64:65], v[40:41], v[64:65]
	v_rndne_f32_e32 v27, v64
	v_cmp_nge_f32_e64 s[6:7], s40, v23
	v_cndmask_b32_e64 v34, v55, v34, s[4:5]
	v_rndne_f32_e32 v31, v65
	v_cmp_nle_f32_e64 s[4:5], s39, v23
	v_cndmask_b32_e64 v23, v54, v23, s[6:7]
	v_cmp_nge_f32_e64 s[6:7], s40, v27
	v_rndne_f32_e32 v35, v63
	v_cmp_nle_f32_e64 s[2:3], s39, v27
	v_cndmask_b32_e64 v27, v54, v27, s[6:7]
	v_cmp_nge_f32_e64 s[6:7], s40, v31
	v_cmp_nle_f32_e64 s[0:1], s39, v31
	v_cndmask_b32_e64 v31, v54, v31, s[6:7]
	v_cmp_nge_f32_e64 s[6:7], s40, v35
	v_cmp_nle_f32_e32 vcc, s39, v35
	v_cndmask_b32_e64 v35, v54, v35, s[6:7]
	v_cvt_i32_f32_e32 v31, v31
	v_cvt_i32_f32_e32 v35, v35
	;; [unrolled: 1-line block ×4, first 2 shown]
	v_cvt_f32_f16_e32 v63, v36
	v_cvt_f32_f16_e32 v62, v32
	v_cndmask_b32_e64 v31, v55, v31, s[0:1]
	v_cvt_f32_f16_e32 v65, v28
	v_cvt_f32_f16_e32 v64, v24
	v_lshlrev_b16_e32 v61, 8, v61
	v_cndmask_b32_e64 v23, v55, v23, s[4:5]
	v_cndmask_b32_e64 v27, v55, v27, s[2:3]
	v_cndmask_b32_e32 v35, v55, v35, vcc
	v_add_u32_e32 v31, v31, v38
	v_or_b32_sdwa v60, v60, v61 dst_sel:DWORD dst_unused:UNUSED_PAD src0_sel:BYTE_0 src1_sel:DWORD
	v_add_u32_e32 v35, v35, v38
	v_add_u32_e32 v61, v27, v38
	;; [unrolled: 1-line block ×3, first 2 shown]
	v_med3_i32 v31, v31, s41, v56
	v_pk_mul_f32 v[62:63], v[42:43], v[62:63]
	v_med3_i32 v27, v23, s41, v56
	v_med3_i32 v61, v61, s41, v56
	v_med3_i32 v23, v35, s41, v56
	v_lshlrev_b16_e32 v31, 8, v31
	v_rndne_f32_e32 v35, v62
	v_or_b32_sdwa v31, v61, v31 dst_sel:DWORD dst_unused:UNUSED_PAD src0_sel:BYTE_0 src1_sel:DWORD
	v_pk_mul_f32 v[64:65], v[40:41], v[64:65]
	v_rndne_f32_e32 v61, v63
	v_cmp_nge_f32_e64 s[6:7], s40, v35
	v_rndne_f32_e32 v62, v64
	v_cmp_nle_f32_e64 s[4:5], s39, v35
	v_cndmask_b32_e64 v35, v54, v35, s[6:7]
	v_cmp_nge_f32_e64 s[6:7], s40, v61
	v_rndne_f32_e32 v63, v65
	v_cmp_nle_f32_e64 s[2:3], s39, v61
	v_cndmask_b32_e64 v61, v54, v61, s[6:7]
	v_cmp_nge_f32_e64 s[6:7], s40, v62
	v_cmp_nle_f32_e64 s[0:1], s39, v62
	v_cndmask_b32_e64 v62, v54, v62, s[6:7]
	v_cmp_nge_f32_e64 s[6:7], s40, v63
	v_cmp_nle_f32_e32 vcc, s39, v63
	v_cndmask_b32_e64 v63, v54, v63, s[6:7]
	v_cvt_i32_f32_e32 v63, v63
	v_cvt_i32_f32_e32 v62, v62
	;; [unrolled: 1-line block ×3, first 2 shown]
	v_lshlrev_b16_e32 v23, 8, v23
	v_cndmask_b32_e32 v63, v55, v63, vcc
	v_cndmask_b32_e64 v62, v55, v62, s[0:1]
	v_cndmask_b32_e64 v61, v55, v61, s[2:3]
	v_add_u32_e32 v63, v63, v38
	v_add_u32_e32 v62, v62, v38
	v_add_u32_e32 v61, v61, v38
	v_or_b32_sdwa v23, v66, v23 dst_sel:WORD_1 dst_unused:UNUSED_PAD src0_sel:BYTE_0 src1_sel:DWORD
	v_med3_i32 v66, v61, s41, v56
	v_med3_i32 v61, v62, s41, v56
	;; [unrolled: 1-line block ×3, first 2 shown]
	v_lshlrev_b16_e32 v62, 8, v62
	v_or_b32_sdwa v61, v61, v62 dst_sel:DWORD dst_unused:UNUSED_PAD src0_sel:BYTE_0 src1_sel:DWORD
	v_cvt_f32_f16_sdwa v63, v36 dst_sel:DWORD dst_unused:UNUSED_PAD src0_sel:WORD_1
	v_cvt_f32_f16_sdwa v62, v32 dst_sel:DWORD dst_unused:UNUSED_PAD src0_sel:WORD_1
	;; [unrolled: 1-line block ×4, first 2 shown]
	v_cvt_i32_f32_e32 v35, v35
	v_pk_mul_f32 v[62:63], v[42:43], v[62:63]
	v_rndne_f32_e32 v24, v62
	v_pk_mul_f32 v[64:65], v[40:41], v[64:65]
	v_rndne_f32_e32 v28, v64
	v_cmp_nge_f32_e64 s[6:7], s40, v24
	v_cndmask_b32_e64 v35, v55, v35, s[4:5]
	v_rndne_f32_e32 v32, v65
	v_cmp_nle_f32_e64 s[4:5], s39, v24
	v_cndmask_b32_e64 v24, v54, v24, s[6:7]
	v_cmp_nge_f32_e64 s[6:7], s40, v28
	v_cmp_nle_f32_e64 s[2:3], s39, v28
	v_cndmask_b32_e64 v28, v54, v28, s[6:7]
	v_cmp_nge_f32_e64 s[6:7], s40, v32
	v_cmp_nle_f32_e64 s[0:1], s39, v32
	v_cndmask_b32_e64 v32, v54, v32, s[6:7]
	v_cvt_i32_f32_e32 v32, v32
	v_cvt_i32_f32_e32 v28, v28
	v_rndne_f32_e32 v36, v63
	v_cmp_nge_f32_e64 s[6:7], s40, v36
	v_cndmask_b32_e64 v32, v55, v32, s[0:1]
	v_cndmask_b32_e64 v28, v55, v28, s[2:3]
	v_add_u32_e32 v32, v32, v38
	v_cmp_nle_f32_e32 vcc, s39, v36
	v_cndmask_b32_e64 v36, v54, v36, s[6:7]
	v_add_u32_e32 v62, v28, v38
	v_med3_i32 v32, v32, s41, v56
	v_cvt_i32_f32_e32 v36, v36
	v_cvt_i32_f32_e32 v24, v24
	v_med3_i32 v62, v62, s41, v56
	v_lshlrev_b16_e32 v32, 8, v32
	v_or_b32_sdwa v32, v62, v32 dst_sel:DWORD dst_unused:UNUSED_PAD src0_sel:BYTE_0 src1_sel:DWORD
	v_cvt_f32_f16_e32 v63, v37
	v_cvt_f32_f16_e32 v62, v33
	;; [unrolled: 1-line block ×4, first 2 shown]
	v_cndmask_b32_e64 v24, v55, v24, s[4:5]
	v_cndmask_b32_e32 v36, v55, v36, vcc
	v_add_u32_e32 v36, v36, v38
	v_add_u32_e32 v24, v24, v38
	v_pk_mul_f32 v[62:63], v[42:43], v[62:63]
	v_med3_i32 v28, v24, s41, v56
	v_med3_i32 v24, v36, s41, v56
	v_rndne_f32_e32 v36, v62
	v_pk_mul_f32 v[64:65], v[40:41], v[64:65]
	v_rndne_f32_e32 v62, v63
	v_cmp_nge_f32_e64 s[6:7], s40, v36
	v_rndne_f32_e32 v63, v64
	v_cmp_nle_f32_e64 s[4:5], s39, v36
	v_cndmask_b32_e64 v36, v54, v36, s[6:7]
	v_cmp_nge_f32_e64 s[6:7], s40, v62
	v_rndne_f32_e32 v64, v65
	v_cmp_nle_f32_e64 s[2:3], s39, v62
	v_cndmask_b32_e64 v62, v54, v62, s[6:7]
	v_cmp_nge_f32_e64 s[6:7], s40, v63
	v_cmp_nle_f32_e64 s[0:1], s39, v63
	v_cndmask_b32_e64 v63, v54, v63, s[6:7]
	v_cmp_nge_f32_e64 s[6:7], s40, v64
	v_cmp_nle_f32_e32 vcc, s39, v64
	v_cndmask_b32_e64 v64, v54, v64, s[6:7]
	v_cvt_i32_f32_e32 v64, v64
	v_cvt_i32_f32_e32 v63, v63
	;; [unrolled: 1-line block ×3, first 2 shown]
	v_lshlrev_b16_e32 v24, 8, v24
	v_cndmask_b32_e32 v64, v55, v64, vcc
	v_cndmask_b32_e64 v63, v55, v63, s[0:1]
	v_cndmask_b32_e64 v62, v55, v62, s[2:3]
	v_add_u32_e32 v64, v64, v38
	v_add_u32_e32 v63, v63, v38
	;; [unrolled: 1-line block ×3, first 2 shown]
	v_med3_i32 v68, v62, s41, v56
	v_med3_i32 v62, v63, s41, v56
	;; [unrolled: 1-line block ×3, first 2 shown]
	v_cvt_f32_f16_sdwa v65, v37 dst_sel:DWORD dst_unused:UNUSED_PAD src0_sel:WORD_1
	v_cvt_f32_f16_sdwa v64, v33 dst_sel:DWORD dst_unused:UNUSED_PAD src0_sel:WORD_1
	v_or_b32_sdwa v24, v66, v24 dst_sel:DWORD dst_unused:UNUSED_PAD src0_sel:BYTE_0 src1_sel:DWORD
	v_cvt_f32_f16_sdwa v66, v25 dst_sel:DWORD dst_unused:UNUSED_PAD src0_sel:WORD_1
	v_cvt_i32_f32_e32 v36, v36
	v_pk_mul_f32 v[64:65], v[42:43], v[64:65]
	v_rndne_f32_e32 v25, v64
	v_pk_mul_f32 v[66:67], v[40:41], v[66:67]
	v_rndne_f32_e32 v29, v66
	v_cmp_nge_f32_e64 s[6:7], s40, v25
	v_cndmask_b32_e64 v36, v55, v36, s[4:5]
	v_rndne_f32_e32 v33, v67
	v_cmp_nle_f32_e64 s[4:5], s39, v25
	v_cndmask_b32_e64 v25, v54, v25, s[6:7]
	v_cmp_nge_f32_e64 s[6:7], s40, v29
	v_rndne_f32_e32 v37, v65
	v_cmp_nle_f32_e64 s[2:3], s39, v29
	v_cndmask_b32_e64 v29, v54, v29, s[6:7]
	v_cmp_nge_f32_e64 s[6:7], s40, v33
	v_cmp_nle_f32_e64 s[0:1], s39, v33
	v_cndmask_b32_e64 v33, v54, v33, s[6:7]
	v_cmp_nge_f32_e64 s[6:7], s40, v37
	v_cmp_nle_f32_e32 vcc, s39, v37
	v_cndmask_b32_e64 v37, v54, v37, s[6:7]
	v_cvt_i32_f32_e32 v33, v33
	v_cvt_i32_f32_e32 v37, v37
	;; [unrolled: 1-line block ×4, first 2 shown]
	s_waitcnt vmcnt(0)
	v_cvt_f32_f16_e32 v65, v18
	v_cvt_f32_f16_e32 v64, v14
	v_cndmask_b32_e64 v33, v55, v33, s[0:1]
	v_cvt_f32_f16_e32 v67, v10
	v_cvt_f32_f16_e32 v66, v6
	v_lshlrev_b16_e32 v63, 8, v63
	v_cndmask_b32_e64 v25, v55, v25, s[4:5]
	v_cndmask_b32_e64 v29, v55, v29, s[2:3]
	v_cndmask_b32_e32 v37, v55, v37, vcc
	v_add_u32_e32 v33, v33, v38
	v_or_b32_sdwa v62, v62, v63 dst_sel:DWORD dst_unused:UNUSED_PAD src0_sel:BYTE_0 src1_sel:DWORD
	v_add_u32_e32 v37, v37, v38
	v_add_u32_e32 v63, v29, v38
	;; [unrolled: 1-line block ×3, first 2 shown]
	v_med3_i32 v33, v33, s41, v56
	v_pk_mul_f32 v[64:65], v[42:43], v[64:65]
	v_med3_i32 v29, v25, s41, v56
	v_med3_i32 v63, v63, s41, v56
	;; [unrolled: 1-line block ×3, first 2 shown]
	v_lshlrev_b16_e32 v33, 8, v33
	v_rndne_f32_e32 v37, v64
	v_or_b32_sdwa v33, v63, v33 dst_sel:DWORD dst_unused:UNUSED_PAD src0_sel:BYTE_0 src1_sel:DWORD
	v_pk_mul_f32 v[66:67], v[40:41], v[66:67]
	v_rndne_f32_e32 v63, v65
	v_cmp_nge_f32_e64 s[6:7], s40, v37
	v_rndne_f32_e32 v64, v66
	v_cmp_nle_f32_e64 s[4:5], s39, v37
	v_cndmask_b32_e64 v37, v54, v37, s[6:7]
	v_cmp_nge_f32_e64 s[6:7], s40, v63
	v_rndne_f32_e32 v65, v67
	v_cmp_nle_f32_e64 s[2:3], s39, v63
	v_cndmask_b32_e64 v63, v54, v63, s[6:7]
	v_cmp_nge_f32_e64 s[6:7], s40, v64
	v_cmp_nle_f32_e64 s[0:1], s39, v64
	v_cndmask_b32_e64 v64, v54, v64, s[6:7]
	v_cmp_nge_f32_e64 s[6:7], s40, v65
	v_cmp_nle_f32_e32 vcc, s39, v65
	v_cndmask_b32_e64 v65, v54, v65, s[6:7]
	v_cvt_i32_f32_e32 v65, v65
	v_cvt_i32_f32_e32 v64, v64
	;; [unrolled: 1-line block ×3, first 2 shown]
	v_lshlrev_b16_e32 v25, 8, v25
	v_cndmask_b32_e32 v65, v55, v65, vcc
	v_cndmask_b32_e64 v64, v55, v64, s[0:1]
	v_cndmask_b32_e64 v63, v55, v63, s[2:3]
	v_add_u32_e32 v65, v65, v38
	v_add_u32_e32 v64, v64, v38
	;; [unrolled: 1-line block ×3, first 2 shown]
	v_or_b32_sdwa v25, v68, v25 dst_sel:WORD_1 dst_unused:UNUSED_PAD src0_sel:BYTE_0 src1_sel:DWORD
	v_med3_i32 v68, v63, s41, v56
	v_med3_i32 v63, v64, s41, v56
	;; [unrolled: 1-line block ×3, first 2 shown]
	v_lshlrev_b16_e32 v64, 8, v64
	v_or_b32_sdwa v63, v63, v64 dst_sel:DWORD dst_unused:UNUSED_PAD src0_sel:BYTE_0 src1_sel:DWORD
	v_cvt_f32_f16_sdwa v65, v18 dst_sel:DWORD dst_unused:UNUSED_PAD src0_sel:WORD_1
	v_cvt_f32_f16_sdwa v64, v14 dst_sel:DWORD dst_unused:UNUSED_PAD src0_sel:WORD_1
	;; [unrolled: 1-line block ×4, first 2 shown]
	v_cvt_i32_f32_e32 v37, v37
	v_pk_mul_f32 v[64:65], v[42:43], v[64:65]
	v_rndne_f32_e32 v6, v64
	v_pk_mul_f32 v[66:67], v[40:41], v[66:67]
	v_rndne_f32_e32 v10, v66
	v_cmp_nge_f32_e64 s[6:7], s40, v6
	v_cndmask_b32_e64 v37, v55, v37, s[4:5]
	v_rndne_f32_e32 v14, v67
	v_cmp_nle_f32_e64 s[4:5], s39, v6
	v_cndmask_b32_e64 v6, v54, v6, s[6:7]
	v_cmp_nge_f32_e64 s[6:7], s40, v10
	v_cmp_nle_f32_e64 s[2:3], s39, v10
	v_cndmask_b32_e64 v10, v54, v10, s[6:7]
	v_cmp_nge_f32_e64 s[6:7], s40, v14
	v_cmp_nle_f32_e64 s[0:1], s39, v14
	v_cndmask_b32_e64 v14, v54, v14, s[6:7]
	v_cvt_i32_f32_e32 v14, v14
	v_cvt_i32_f32_e32 v10, v10
	v_rndne_f32_e32 v18, v65
	v_cmp_nge_f32_e64 s[6:7], s40, v18
	v_cndmask_b32_e64 v14, v55, v14, s[0:1]
	v_cndmask_b32_e64 v10, v55, v10, s[2:3]
	v_add_u32_e32 v14, v14, v38
	v_cmp_nle_f32_e32 vcc, s39, v18
	v_cndmask_b32_e64 v18, v54, v18, s[6:7]
	v_add_u32_e32 v64, v10, v38
	v_med3_i32 v14, v14, s41, v56
	v_cvt_i32_f32_e32 v18, v18
	v_cvt_i32_f32_e32 v6, v6
	v_med3_i32 v64, v64, s41, v56
	v_lshlrev_b16_e32 v14, 8, v14
	v_or_b32_sdwa v14, v64, v14 dst_sel:DWORD dst_unused:UNUSED_PAD src0_sel:BYTE_0 src1_sel:DWORD
	v_cvt_f32_f16_e32 v65, v19
	v_cvt_f32_f16_e32 v64, v15
	;; [unrolled: 1-line block ×4, first 2 shown]
	v_cndmask_b32_e64 v6, v55, v6, s[4:5]
	v_cndmask_b32_e32 v18, v55, v18, vcc
	v_add_u32_e32 v18, v18, v38
	v_add_u32_e32 v6, v6, v38
	v_pk_mul_f32 v[64:65], v[42:43], v[64:65]
	v_med3_i32 v10, v6, s41, v56
	v_med3_i32 v6, v18, s41, v56
	v_rndne_f32_e32 v18, v64
	v_pk_mul_f32 v[66:67], v[40:41], v[66:67]
	v_rndne_f32_e32 v64, v65
	v_cmp_nge_f32_e64 s[6:7], s40, v18
	v_rndne_f32_e32 v65, v66
	v_cmp_nle_f32_e64 s[4:5], s39, v18
	v_cndmask_b32_e64 v18, v54, v18, s[6:7]
	v_cmp_nge_f32_e64 s[6:7], s40, v64
	v_rndne_f32_e32 v66, v67
	v_cmp_nle_f32_e64 s[2:3], s39, v64
	v_cndmask_b32_e64 v64, v54, v64, s[6:7]
	v_cmp_nge_f32_e64 s[6:7], s40, v65
	v_cmp_nle_f32_e64 s[0:1], s39, v65
	v_cndmask_b32_e64 v65, v54, v65, s[6:7]
	v_cmp_nge_f32_e64 s[6:7], s40, v66
	v_cmp_nle_f32_e32 vcc, s39, v66
	v_cndmask_b32_e64 v66, v54, v66, s[6:7]
	v_cvt_i32_f32_e32 v66, v66
	v_cvt_i32_f32_e32 v65, v65
	;; [unrolled: 1-line block ×3, first 2 shown]
	v_lshlrev_b16_e32 v6, 8, v6
	v_cndmask_b32_e32 v66, v55, v66, vcc
	v_cndmask_b32_e64 v65, v55, v65, s[0:1]
	v_cndmask_b32_e64 v64, v55, v64, s[2:3]
	v_add_u32_e32 v66, v66, v38
	v_add_u32_e32 v65, v65, v38
	;; [unrolled: 1-line block ×3, first 2 shown]
	v_med3_i32 v70, v64, s41, v56
	v_med3_i32 v64, v65, s41, v56
	;; [unrolled: 1-line block ×3, first 2 shown]
	v_cvt_f32_f16_sdwa v67, v19 dst_sel:DWORD dst_unused:UNUSED_PAD src0_sel:WORD_1
	v_cvt_f32_f16_sdwa v66, v15 dst_sel:DWORD dst_unused:UNUSED_PAD src0_sel:WORD_1
	v_or_b32_sdwa v6, v68, v6 dst_sel:DWORD dst_unused:UNUSED_PAD src0_sel:BYTE_0 src1_sel:DWORD
	v_cvt_f32_f16_sdwa v68, v7 dst_sel:DWORD dst_unused:UNUSED_PAD src0_sel:WORD_1
	v_cvt_i32_f32_e32 v18, v18
	v_pk_mul_f32 v[66:67], v[42:43], v[66:67]
	v_rndne_f32_e32 v7, v66
	v_pk_mul_f32 v[68:69], v[40:41], v[68:69]
	v_rndne_f32_e32 v11, v68
	v_cmp_nge_f32_e64 s[6:7], s40, v7
	v_cndmask_b32_e64 v18, v55, v18, s[4:5]
	v_rndne_f32_e32 v15, v69
	v_cmp_nle_f32_e64 s[4:5], s39, v7
	v_cndmask_b32_e64 v7, v54, v7, s[6:7]
	v_cmp_nge_f32_e64 s[6:7], s40, v11
	v_rndne_f32_e32 v19, v67
	v_cmp_nle_f32_e64 s[2:3], s39, v11
	v_cndmask_b32_e64 v11, v54, v11, s[6:7]
	v_cmp_nge_f32_e64 s[6:7], s40, v15
	v_cmp_nle_f32_e64 s[0:1], s39, v15
	v_cndmask_b32_e64 v15, v54, v15, s[6:7]
	v_cmp_nge_f32_e64 s[6:7], s40, v19
	v_cmp_nle_f32_e32 vcc, s39, v19
	v_cndmask_b32_e64 v19, v54, v19, s[6:7]
	v_cvt_i32_f32_e32 v15, v15
	v_cvt_i32_f32_e32 v19, v19
	;; [unrolled: 1-line block ×4, first 2 shown]
	v_cvt_f32_f16_e32 v67, v20
	v_cvt_f32_f16_e32 v66, v16
	v_cndmask_b32_e64 v15, v55, v15, s[0:1]
	v_cvt_f32_f16_e32 v69, v12
	v_cvt_f32_f16_e32 v68, v8
	v_lshlrev_b16_e32 v65, 8, v65
	v_cndmask_b32_e64 v7, v55, v7, s[4:5]
	v_cndmask_b32_e64 v11, v55, v11, s[2:3]
	v_cndmask_b32_e32 v19, v55, v19, vcc
	v_add_u32_e32 v15, v15, v38
	v_or_b32_sdwa v64, v64, v65 dst_sel:DWORD dst_unused:UNUSED_PAD src0_sel:BYTE_0 src1_sel:DWORD
	v_add_u32_e32 v19, v19, v38
	v_add_u32_e32 v65, v11, v38
	;; [unrolled: 1-line block ×3, first 2 shown]
	v_med3_i32 v15, v15, s41, v56
	v_pk_mul_f32 v[66:67], v[42:43], v[66:67]
	v_med3_i32 v11, v7, s41, v56
	v_med3_i32 v65, v65, s41, v56
	;; [unrolled: 1-line block ×3, first 2 shown]
	v_lshlrev_b16_e32 v15, 8, v15
	v_rndne_f32_e32 v19, v66
	v_or_b32_sdwa v15, v65, v15 dst_sel:DWORD dst_unused:UNUSED_PAD src0_sel:BYTE_0 src1_sel:DWORD
	v_pk_mul_f32 v[68:69], v[40:41], v[68:69]
	v_rndne_f32_e32 v65, v67
	v_cmp_nge_f32_e64 s[6:7], s40, v19
	v_rndne_f32_e32 v66, v68
	v_cmp_nle_f32_e64 s[4:5], s39, v19
	v_cndmask_b32_e64 v19, v54, v19, s[6:7]
	v_cmp_nge_f32_e64 s[6:7], s40, v65
	v_rndne_f32_e32 v67, v69
	v_cmp_nle_f32_e64 s[2:3], s39, v65
	v_cndmask_b32_e64 v65, v54, v65, s[6:7]
	v_cmp_nge_f32_e64 s[6:7], s40, v66
	v_cmp_nle_f32_e64 s[0:1], s39, v66
	v_cndmask_b32_e64 v66, v54, v66, s[6:7]
	v_cmp_nge_f32_e64 s[6:7], s40, v67
	v_cmp_nle_f32_e32 vcc, s39, v67
	v_cndmask_b32_e64 v67, v54, v67, s[6:7]
	v_cvt_i32_f32_e32 v67, v67
	v_cvt_i32_f32_e32 v66, v66
	;; [unrolled: 1-line block ×3, first 2 shown]
	v_lshlrev_b16_e32 v7, 8, v7
	v_cndmask_b32_e32 v67, v55, v67, vcc
	v_cndmask_b32_e64 v66, v55, v66, s[0:1]
	v_cndmask_b32_e64 v65, v55, v65, s[2:3]
	v_add_u32_e32 v67, v67, v38
	v_add_u32_e32 v66, v66, v38
	;; [unrolled: 1-line block ×3, first 2 shown]
	v_or_b32_sdwa v7, v70, v7 dst_sel:WORD_1 dst_unused:UNUSED_PAD src0_sel:BYTE_0 src1_sel:DWORD
	v_med3_i32 v70, v65, s41, v56
	v_med3_i32 v65, v66, s41, v56
	;; [unrolled: 1-line block ×3, first 2 shown]
	v_lshlrev_b16_e32 v66, 8, v66
	v_or_b32_sdwa v65, v65, v66 dst_sel:DWORD dst_unused:UNUSED_PAD src0_sel:BYTE_0 src1_sel:DWORD
	v_cvt_f32_f16_sdwa v67, v20 dst_sel:DWORD dst_unused:UNUSED_PAD src0_sel:WORD_1
	v_cvt_f32_f16_sdwa v66, v16 dst_sel:DWORD dst_unused:UNUSED_PAD src0_sel:WORD_1
	;; [unrolled: 1-line block ×4, first 2 shown]
	v_cvt_i32_f32_e32 v19, v19
	v_pk_mul_f32 v[66:67], v[42:43], v[66:67]
	v_rndne_f32_e32 v8, v66
	v_pk_mul_f32 v[68:69], v[40:41], v[68:69]
	v_rndne_f32_e32 v12, v68
	v_cmp_nge_f32_e64 s[6:7], s40, v8
	v_cndmask_b32_e64 v19, v55, v19, s[4:5]
	v_rndne_f32_e32 v16, v69
	v_cmp_nle_f32_e64 s[4:5], s39, v8
	v_cndmask_b32_e64 v8, v54, v8, s[6:7]
	v_cmp_nge_f32_e64 s[6:7], s40, v12
	v_cmp_nle_f32_e64 s[2:3], s39, v12
	v_cndmask_b32_e64 v12, v54, v12, s[6:7]
	v_cmp_nge_f32_e64 s[6:7], s40, v16
	v_cmp_nle_f32_e64 s[0:1], s39, v16
	v_cndmask_b32_e64 v16, v54, v16, s[6:7]
	v_cvt_i32_f32_e32 v16, v16
	v_cvt_i32_f32_e32 v12, v12
	v_rndne_f32_e32 v20, v67
	v_cmp_nge_f32_e64 s[6:7], s40, v20
	v_cndmask_b32_e64 v16, v55, v16, s[0:1]
	v_cndmask_b32_e64 v12, v55, v12, s[2:3]
	v_add_u32_e32 v16, v16, v38
	v_cmp_nle_f32_e32 vcc, s39, v20
	v_cndmask_b32_e64 v20, v54, v20, s[6:7]
	v_add_u32_e32 v66, v12, v38
	v_med3_i32 v16, v16, s41, v56
	v_cvt_i32_f32_e32 v20, v20
	v_cvt_i32_f32_e32 v8, v8
	v_med3_i32 v66, v66, s41, v56
	v_lshlrev_b16_e32 v16, 8, v16
	v_or_b32_sdwa v16, v66, v16 dst_sel:DWORD dst_unused:UNUSED_PAD src0_sel:BYTE_0 src1_sel:DWORD
	v_cvt_f32_f16_e32 v67, v21
	v_cvt_f32_f16_e32 v66, v17
	;; [unrolled: 1-line block ×4, first 2 shown]
	v_cndmask_b32_e64 v8, v55, v8, s[4:5]
	v_cndmask_b32_e32 v20, v55, v20, vcc
	v_add_u32_e32 v20, v20, v38
	v_add_u32_e32 v8, v8, v38
	v_pk_mul_f32 v[66:67], v[42:43], v[66:67]
	v_med3_i32 v12, v8, s41, v56
	v_med3_i32 v8, v20, s41, v56
	v_rndne_f32_e32 v20, v66
	v_pk_mul_f32 v[68:69], v[40:41], v[68:69]
	v_rndne_f32_e32 v66, v67
	v_cmp_nge_f32_e64 s[6:7], s40, v20
	v_rndne_f32_e32 v67, v68
	v_cmp_nle_f32_e64 s[4:5], s39, v20
	v_cndmask_b32_e64 v20, v54, v20, s[6:7]
	v_cmp_nge_f32_e64 s[6:7], s40, v66
	v_rndne_f32_e32 v68, v69
	v_cmp_nle_f32_e64 s[2:3], s39, v66
	v_cndmask_b32_e64 v66, v54, v66, s[6:7]
	v_cmp_nge_f32_e64 s[6:7], s40, v67
	v_cmp_nle_f32_e64 s[0:1], s39, v67
	v_cndmask_b32_e64 v67, v54, v67, s[6:7]
	v_cmp_nge_f32_e64 s[6:7], s40, v68
	v_cmp_nle_f32_e32 vcc, s39, v68
	v_cndmask_b32_e64 v68, v54, v68, s[6:7]
	v_cvt_i32_f32_e32 v68, v68
	v_cvt_i32_f32_e32 v67, v67
	;; [unrolled: 1-line block ×3, first 2 shown]
	v_lshlrev_b16_e32 v8, 8, v8
	v_cndmask_b32_e32 v68, v55, v68, vcc
	v_cndmask_b32_e64 v67, v55, v67, s[0:1]
	v_cndmask_b32_e64 v66, v55, v66, s[2:3]
	v_add_u32_e32 v68, v68, v38
	v_add_u32_e32 v67, v67, v38
	;; [unrolled: 1-line block ×3, first 2 shown]
	v_med3_i32 v72, v66, s41, v56
	v_med3_i32 v66, v67, s41, v56
	;; [unrolled: 1-line block ×3, first 2 shown]
	v_cvt_f32_f16_sdwa v69, v21 dst_sel:DWORD dst_unused:UNUSED_PAD src0_sel:WORD_1
	v_cvt_f32_f16_sdwa v68, v17 dst_sel:DWORD dst_unused:UNUSED_PAD src0_sel:WORD_1
	v_or_b32_sdwa v8, v70, v8 dst_sel:DWORD dst_unused:UNUSED_PAD src0_sel:BYTE_0 src1_sel:DWORD
	v_cvt_f32_f16_sdwa v71, v13 dst_sel:DWORD dst_unused:UNUSED_PAD src0_sel:WORD_1
	v_cvt_f32_f16_sdwa v70, v9 dst_sel:DWORD dst_unused:UNUSED_PAD src0_sel:WORD_1
	v_cvt_i32_f32_e32 v20, v20
	v_pk_mul_f32 v[68:69], v[42:43], v[68:69]
	v_rndne_f32_e32 v9, v68
	v_pk_mul_f32 v[70:71], v[40:41], v[70:71]
	v_rndne_f32_e32 v13, v70
	v_cmp_nge_f32_e64 s[6:7], s40, v9
	v_cndmask_b32_e64 v20, v55, v20, s[4:5]
	v_rndne_f32_e32 v17, v71
	v_cmp_nle_f32_e64 s[4:5], s39, v9
	v_cndmask_b32_e64 v9, v54, v9, s[6:7]
	v_cmp_nge_f32_e64 s[6:7], s40, v13
	v_rndne_f32_e32 v21, v69
	v_cmp_nle_f32_e64 s[2:3], s39, v13
	v_cndmask_b32_e64 v13, v54, v13, s[6:7]
	v_cmp_nge_f32_e64 s[6:7], s40, v17
	v_cmp_nle_f32_e64 s[0:1], s39, v17
	v_cndmask_b32_e64 v17, v54, v17, s[6:7]
	v_cmp_nge_f32_e64 s[6:7], s40, v21
	v_cmp_nle_f32_e32 vcc, s39, v21
	v_cndmask_b32_e64 v21, v54, v21, s[6:7]
	v_cvt_i32_f32_e32 v21, v21
	v_cvt_i32_f32_e32 v17, v17
	;; [unrolled: 1-line block ×3, first 2 shown]
	v_lshlrev_b64 v[68:69], 4, v[44:45]
	v_cndmask_b32_e32 v21, v55, v21, vcc
	v_cndmask_b32_e64 v17, v55, v17, s[0:1]
	v_add_co_u32_e32 v68, vcc, s35, v68
	v_cndmask_b32_e64 v13, v55, v13, s[2:3]
	v_add_u32_e32 v17, v17, v38
	v_addc_co_u32_e32 v69, vcc, v57, v69, vcc
	v_add_u32_e32 v13, v13, v38
	v_med3_i32 v17, v17, s41, v56
	v_add_co_u32_e32 v46, vcc, s35, v46
	v_add_u32_e32 v1, v1, v38
	v_and_b32_e32 v59, 0xffff, v59
	v_med3_i32 v13, v13, s41, v56
	v_lshlrev_b16_e32 v17, 8, v17
	v_addc_co_u32_e32 v47, vcc, v57, v47, vcc
	v_med3_i32 v1, v1, s41, v56
	v_and_b32_e32 v30, 0xffff, v30
	v_or_b32_sdwa v13, v13, v17 dst_sel:DWORD dst_unused:UNUSED_PAD src0_sel:BYTE_0 src1_sel:DWORD
	v_add_co_u32_e32 v48, vcc, s35, v48
	v_lshrrev_b32_e32 v17, 8, v59
	v_and_b32_e32 v60, 0xffff, v60
	v_addc_co_u32_e32 v49, vcc, v57, v49, vcc
	global_store_byte v[68:69], v59, off
	global_store_byte v[46:47], v17, off
	global_store_byte v[48:49], v1, off
	global_store_byte v[68:69], v30, off offset:1
	v_lshrrev_b32_e32 v1, 8, v30
	v_add_u32_e32 v34, v34, v38
	v_and_b32_e32 v31, 0xffff, v31
	global_store_byte v[46:47], v1, off offset:1
	global_store_byte v[48:49], v26, off offset:1
	global_store_byte v[68:69], v60, off offset:2
	v_lshrrev_b32_e32 v1, 8, v60
	v_med3_i32 v34, v34, s41, v56
	v_and_b32_e32 v61, 0xffff, v61
	global_store_byte v[46:47], v1, off offset:2
	global_store_byte v[48:49], v34, off offset:2
	global_store_byte v[68:69], v31, off offset:3
	v_lshrrev_b32_e32 v1, 8, v31
	v_add_u32_e32 v35, v35, v38
	v_and_b32_e32 v32, 0xffff, v32
	global_store_byte v[46:47], v1, off offset:3
	global_store_byte v[48:49], v27, off offset:3
	global_store_byte v[68:69], v61, off offset:4
	v_lshrrev_b32_e32 v1, 8, v61
	v_med3_i32 v35, v35, s41, v56
	v_and_b32_e32 v62, 0xffff, v62
	global_store_byte v[46:47], v1, off offset:4
	global_store_byte v[48:49], v35, off offset:4
	;; [unrolled: 12-line block ×3, first 2 shown]
	global_store_byte v[68:69], v33, off offset:7
	v_lshrrev_b32_e32 v1, 8, v33
	v_add_u32_e32 v37, v37, v38
	v_and_b32_e32 v14, 0xffff, v14
	global_store_byte v[46:47], v1, off offset:7
	global_store_byte v[48:49], v29, off offset:7
	;; [unrolled: 1-line block ×3, first 2 shown]
	v_lshrrev_b32_e32 v1, 8, v63
	v_med3_i32 v37, v37, s41, v56
	v_and_b32_e32 v64, 0xffff, v64
	v_cvt_i32_f32_e32 v9, v9
	global_store_byte v[46:47], v1, off offset:8
	global_store_byte v[48:49], v37, off offset:8
	;; [unrolled: 1-line block ×3, first 2 shown]
	v_lshrrev_b32_e32 v1, 8, v14
	v_add_u32_e32 v18, v18, v38
	v_and_b32_e32 v15, 0xffff, v15
	global_store_byte v[46:47], v1, off offset:9
	global_store_byte v[48:49], v10, off offset:9
	global_store_byte v[68:69], v64, off offset:10
	v_lshrrev_b32_e32 v1, 8, v64
	v_med3_i32 v18, v18, s41, v56
	v_and_b32_e32 v65, 0xffff, v65
	v_lshlrev_b16_e32 v67, 8, v67
	global_store_byte v[46:47], v1, off offset:10
	global_store_byte v[48:49], v18, off offset:10
	;; [unrolled: 1-line block ×3, first 2 shown]
	v_lshrrev_b32_e32 v1, 8, v15
	v_add_u32_e32 v19, v19, v38
	v_and_b32_e32 v16, 0xffff, v16
	v_or_b32_sdwa v66, v66, v67 dst_sel:DWORD dst_unused:UNUSED_PAD src0_sel:BYTE_0 src1_sel:DWORD
	v_add_u32_e32 v21, v21, v38
	global_store_byte v[46:47], v1, off offset:11
	global_store_byte v[48:49], v11, off offset:11
	;; [unrolled: 1-line block ×3, first 2 shown]
	v_lshrrev_b32_e32 v1, 8, v65
	v_med3_i32 v19, v19, s41, v56
	v_and_b32_e32 v66, 0xffff, v66
	v_cndmask_b32_e64 v9, v55, v9, s[4:5]
	v_med3_i32 v21, v21, s41, v56
	v_add_co_u32_e32 v50, vcc, s35, v50
	global_store_byte v[46:47], v1, off offset:12
	global_store_byte v[48:49], v19, off offset:12
	global_store_byte v[68:69], v16, off offset:13
	v_lshrrev_b32_e32 v1, 8, v16
	v_add_u32_e32 v20, v20, v38
	v_add_u32_e32 v9, v9, v38
	v_lshlrev_b16_e32 v21, 8, v21
	v_and_b32_e32 v13, 0xffff, v13
	v_addc_co_u32_e32 v51, vcc, v57, v51, vcc
	global_store_byte v[46:47], v1, off offset:13
	global_store_byte v[48:49], v12, off offset:13
	;; [unrolled: 1-line block ×3, first 2 shown]
	v_lshrrev_b32_e32 v1, 8, v66
	v_med3_i32 v20, v20, s41, v56
	v_med3_i32 v9, v9, s41, v56
	v_or_b32_sdwa v21, v72, v21 dst_sel:WORD_1 dst_unused:UNUSED_PAD src0_sel:BYTE_0 src1_sel:DWORD
	global_store_byte v[46:47], v1, off offset:14
	global_store_byte v[48:49], v20, off offset:14
	;; [unrolled: 1-line block ×3, first 2 shown]
	v_lshrrev_b32_e32 v1, 8, v13
	v_cmp_eq_u32_e32 vcc, 0, v58
	global_store_byte v[46:47], v1, off offset:15
	global_store_byte v[48:49], v9, off offset:15
	v_or_b32_sdwa v9, v8, v21 dst_sel:DWORD dst_unused:UNUSED_PAD src0_sel:WORD_0 src1_sel:DWORD
	v_or_b32_sdwa v8, v6, v7 dst_sel:DWORD dst_unused:UNUSED_PAD src0_sel:WORD_0 src1_sel:DWORD
	;; [unrolled: 1-line block ×4, first 2 shown]
	s_or_b64 s[26:27], vcc, s[26:27]
	global_store_dwordx4 v[50:51], v[6:9], off
	s_andn2_b64 exec, exec, s[26:27]
	s_cbranch_execnz .LBB9_60
; %bb.61:
	s_or_b64 exec, exec, s[26:27]
	v_cmp_ne_u32_e32 vcc, v39, v52
	v_add_u32_e32 v10, v0, v52
	s_orn2_b64 s[0:1], vcc, exec
.LBB9_62:
	s_or_b64 exec, exec, s[24:25]
	s_and_b64 exec, exec, s[0:1]
	s_cbranch_execz .LBB9_129
; %bb.63:
	s_add_u32 s0, s18, s12
	s_addc_u32 s1, s19, s13
	v_mov_b32_e32 v11, 0
	s_add_u32 s0, s14, s0
	v_lshlrev_b64 v[2:3], 4, v[10:11]
	s_addc_u32 s1, s15, s1
	s_lshl_b32 s7, s28, 4
	v_add_co_u32_e32 v12, vcc, s0, v2
	s_add_u32 s0, s8, s20
	v_mov_b32_e32 v1, s1
	s_addc_u32 s1, s9, s21
	s_add_u32 s0, s0, s10
	v_addc_co_u32_e32 v13, vcc, v1, v3, vcc
	v_lshlrev_b64 v[2:3], 5, v[10:11]
	s_addc_u32 s1, s1, s11
	s_mov_b32 s6, 0
	v_mov_b32_e32 v1, s1
	v_add_co_u32_e32 v14, vcc, s0, v2
	v_addc_co_u32_e32 v15, vcc, v1, v3, vcc
	s_lshl_b32 s24, s28, 5
	s_mov_b32 s25, s6
	s_mov_b64 s[0:1], 0
	s_mov_b32 s26, 0x4f000000
	s_mov_b32 s27, 0xcf000000
	s_movk_i32 s39, 0xff80
	v_mov_b32_e32 v1, 0x7f
	s_branch .LBB9_66
.LBB9_64:                               ;   in Loop: Header=BB9_66 Depth=1
	s_or_b64 exec, exec, s[4:5]
.LBB9_65:                               ;   in Loop: Header=BB9_66 Depth=1
	s_or_b64 exec, exec, s[2:3]
	v_add_u32_e32 v3, v3, v38
	v_add_u32_e32 v4, v4, v38
	;; [unrolled: 1-line block ×3, first 2 shown]
	v_med3_i32 v3, v3, s39, v1
	v_add_u32_e32 v22, v22, v38
	v_med3_i32 v4, v4, s39, v1
	v_med3_i32 v5, v5, s39, v1
	;; [unrolled: 1-line block ×3, first 2 shown]
	v_add_u32_e32 v2, v2, v38
	v_add_u32_e32 v9, v9, v38
	v_lshlrev_b16_e32 v3, 8, v3
	v_lshlrev_b16_e32 v4, 8, v4
	v_med3_i32 v2, v2, s39, v1
	v_add_u32_e32 v21, v21, v38
	v_med3_i32 v9, v9, s39, v1
	v_add_u32_e32 v20, v20, v38
	v_or_b32_sdwa v3, v22, v3 dst_sel:DWORD dst_unused:UNUSED_PAD src0_sel:BYTE_0 src1_sel:DWORD
	v_or_b32_sdwa v4, v5, v4 dst_sel:WORD_1 dst_unused:UNUSED_PAD src0_sel:BYTE_0 src1_sel:DWORD
	v_med3_i32 v21, v21, s39, v1
	v_med3_i32 v20, v20, s39, v1
	v_add_u32_e32 v8, v8, v38
	v_add_u32_e32 v7, v7, v38
	v_or_b32_sdwa v5, v3, v4 dst_sel:DWORD dst_unused:UNUSED_PAD src0_sel:WORD_0 src1_sel:DWORD
	v_lshlrev_b16_e32 v3, 8, v9
	v_lshlrev_b16_e32 v2, 8, v2
	v_med3_i32 v8, v8, s39, v1
	v_add_u32_e32 v19, v19, v38
	v_med3_i32 v7, v7, s39, v1
	v_add_u32_e32 v18, v18, v38
	v_or_b32_sdwa v3, v20, v3 dst_sel:DWORD dst_unused:UNUSED_PAD src0_sel:BYTE_0 src1_sel:DWORD
	v_or_b32_sdwa v2, v21, v2 dst_sel:WORD_1 dst_unused:UNUSED_PAD src0_sel:BYTE_0 src1_sel:DWORD
	v_med3_i32 v19, v19, s39, v1
	v_med3_i32 v18, v18, s39, v1
	v_add_u32_e32 v6, v6, v38
	v_add_u32_e32 v11, v11, v38
	v_or_b32_sdwa v4, v3, v2 dst_sel:DWORD dst_unused:UNUSED_PAD src0_sel:WORD_0 src1_sel:DWORD
	v_lshlrev_b16_e32 v2, 8, v7
	v_lshlrev_b16_e32 v3, 8, v8
	v_med3_i32 v6, v6, s39, v1
	v_add_u32_e32 v17, v17, v38
	v_med3_i32 v11, v11, s39, v1
	v_add_u32_e32 v16, v16, v38
	v_or_b32_sdwa v2, v18, v2 dst_sel:DWORD dst_unused:UNUSED_PAD src0_sel:BYTE_0 src1_sel:DWORD
	v_or_b32_sdwa v3, v19, v3 dst_sel:WORD_1 dst_unused:UNUSED_PAD src0_sel:BYTE_0 src1_sel:DWORD
	v_med3_i32 v17, v17, s39, v1
	v_med3_i32 v16, v16, s39, v1
	v_or_b32_sdwa v3, v2, v3 dst_sel:DWORD dst_unused:UNUSED_PAD src0_sel:WORD_0 src1_sel:DWORD
	v_lshlrev_b16_e32 v2, 8, v11
	v_lshlrev_b16_e32 v6, 8, v6
	v_or_b32_sdwa v2, v16, v2 dst_sel:DWORD dst_unused:UNUSED_PAD src0_sel:BYTE_0 src1_sel:DWORD
	v_or_b32_sdwa v6, v17, v6 dst_sel:WORD_1 dst_unused:UNUSED_PAD src0_sel:BYTE_0 src1_sel:DWORD
	v_or_b32_sdwa v2, v2, v6 dst_sel:DWORD dst_unused:UNUSED_PAD src0_sel:WORD_0 src1_sel:DWORD
	global_store_dwordx4 v[12:13], v[2:5], off
	v_add_co_u32_e32 v12, vcc, s7, v12
	v_mov_b32_e32 v2, s6
	v_add_u32_e32 v10, s28, v10
	v_addc_co_u32_e32 v13, vcc, v13, v2, vcc
	v_cmp_le_i32_e32 vcc, s38, v10
	v_mov_b32_e32 v2, s25
	s_or_b64 s[0:1], vcc, s[0:1]
	v_add_co_u32_e32 v14, vcc, s24, v14
	v_addc_co_u32_e32 v15, vcc, v15, v2, vcc
	s_andn2_b64 exec, exec, s[0:1]
	s_cbranch_execz .LBB9_129
.LBB9_66:                               ; =>This Inner Loop Header: Depth=1
	global_load_dwordx4 v[6:9], v[14:15], off
	global_load_dwordx4 v[2:5], v[14:15], off offset:16
	v_bfrev_b32_e32 v11, -2
	s_waitcnt vmcnt(1)
	v_cvt_f32_f16_e32 v16, v6
	v_mul_f32_e32 v16, v40, v16
	v_rndne_f32_e32 v17, v16
	v_cmp_nle_f32_e32 vcc, s26, v17
	v_bfrev_b32_e32 v16, -2
	s_and_saveexec_b64 s[2:3], vcc
	s_cbranch_execz .LBB9_70
; %bb.67:                               ;   in Loop: Header=BB9_66 Depth=1
	v_cmp_nge_f32_e32 vcc, s27, v17
	v_bfrev_b32_e32 v16, 1
	s_and_saveexec_b64 s[4:5], vcc
; %bb.68:                               ;   in Loop: Header=BB9_66 Depth=1
	v_cvt_i32_f32_e32 v16, v17
; %bb.69:                               ;   in Loop: Header=BB9_66 Depth=1
	s_or_b64 exec, exec, s[4:5]
.LBB9_70:                               ;   in Loop: Header=BB9_66 Depth=1
	s_or_b64 exec, exec, s[2:3]
	v_cvt_f32_f16_sdwa v6, v6 dst_sel:DWORD dst_unused:UNUSED_PAD src0_sel:WORD_1
	v_mul_f32_e32 v6, v40, v6
	v_rndne_f32_e32 v6, v6
	v_cmp_nle_f32_e32 vcc, s26, v6
	s_and_saveexec_b64 s[2:3], vcc
	s_cbranch_execz .LBB9_74
; %bb.71:                               ;   in Loop: Header=BB9_66 Depth=1
	v_cmp_nge_f32_e32 vcc, s27, v6
	v_bfrev_b32_e32 v11, 1
	s_and_saveexec_b64 s[4:5], vcc
; %bb.72:                               ;   in Loop: Header=BB9_66 Depth=1
	v_cvt_i32_f32_e32 v11, v6
; %bb.73:                               ;   in Loop: Header=BB9_66 Depth=1
	s_or_b64 exec, exec, s[4:5]
.LBB9_74:                               ;   in Loop: Header=BB9_66 Depth=1
	s_or_b64 exec, exec, s[2:3]
	v_cvt_f32_f16_e32 v17, v7
	v_bfrev_b32_e32 v6, -2
	v_mul_f32_e32 v17, v40, v17
	v_rndne_f32_e32 v18, v17
	v_cmp_nle_f32_e32 vcc, s26, v18
	v_bfrev_b32_e32 v17, -2
	s_and_saveexec_b64 s[2:3], vcc
	s_cbranch_execz .LBB9_78
; %bb.75:                               ;   in Loop: Header=BB9_66 Depth=1
	v_cmp_nge_f32_e32 vcc, s27, v18
	v_bfrev_b32_e32 v17, 1
	s_and_saveexec_b64 s[4:5], vcc
; %bb.76:                               ;   in Loop: Header=BB9_66 Depth=1
	v_cvt_i32_f32_e32 v17, v18
; %bb.77:                               ;   in Loop: Header=BB9_66 Depth=1
	s_or_b64 exec, exec, s[4:5]
.LBB9_78:                               ;   in Loop: Header=BB9_66 Depth=1
	s_or_b64 exec, exec, s[2:3]
	v_cvt_f32_f16_sdwa v7, v7 dst_sel:DWORD dst_unused:UNUSED_PAD src0_sel:WORD_1
	v_mul_f32_e32 v7, v40, v7
	v_rndne_f32_e32 v7, v7
	v_cmp_nle_f32_e32 vcc, s26, v7
	s_and_saveexec_b64 s[2:3], vcc
	s_cbranch_execz .LBB9_82
; %bb.79:                               ;   in Loop: Header=BB9_66 Depth=1
	v_cmp_nge_f32_e32 vcc, s27, v7
	v_bfrev_b32_e32 v6, 1
	s_and_saveexec_b64 s[4:5], vcc
; %bb.80:                               ;   in Loop: Header=BB9_66 Depth=1
	v_cvt_i32_f32_e32 v6, v7
; %bb.81:                               ;   in Loop: Header=BB9_66 Depth=1
	s_or_b64 exec, exec, s[4:5]
.LBB9_82:                               ;   in Loop: Header=BB9_66 Depth=1
	s_or_b64 exec, exec, s[2:3]
	v_cvt_f32_f16_e32 v18, v8
	v_bfrev_b32_e32 v7, -2
	;; [unrolled: 34-line block ×3, first 2 shown]
	v_mul_f32_e32 v19, v40, v19
	v_rndne_f32_e32 v20, v19
	v_cmp_nle_f32_e32 vcc, s26, v20
	v_bfrev_b32_e32 v19, -2
	s_and_saveexec_b64 s[2:3], vcc
	s_cbranch_execz .LBB9_94
; %bb.91:                               ;   in Loop: Header=BB9_66 Depth=1
	v_cmp_nge_f32_e32 vcc, s27, v20
	v_bfrev_b32_e32 v19, 1
	s_and_saveexec_b64 s[4:5], vcc
; %bb.92:                               ;   in Loop: Header=BB9_66 Depth=1
	v_cvt_i32_f32_e32 v19, v20
; %bb.93:                               ;   in Loop: Header=BB9_66 Depth=1
	s_or_b64 exec, exec, s[4:5]
.LBB9_94:                               ;   in Loop: Header=BB9_66 Depth=1
	s_or_b64 exec, exec, s[2:3]
	v_cvt_f32_f16_sdwa v9, v9 dst_sel:DWORD dst_unused:UNUSED_PAD src0_sel:WORD_1
	v_mul_f32_e32 v9, v40, v9
	v_rndne_f32_e32 v9, v9
	v_cmp_nle_f32_e32 vcc, s26, v9
	s_and_saveexec_b64 s[2:3], vcc
	s_cbranch_execz .LBB9_98
; %bb.95:                               ;   in Loop: Header=BB9_66 Depth=1
	v_cmp_nge_f32_e32 vcc, s27, v9
	v_bfrev_b32_e32 v8, 1
	s_and_saveexec_b64 s[4:5], vcc
; %bb.96:                               ;   in Loop: Header=BB9_66 Depth=1
	v_cvt_i32_f32_e32 v8, v9
; %bb.97:                               ;   in Loop: Header=BB9_66 Depth=1
	s_or_b64 exec, exec, s[4:5]
.LBB9_98:                               ;   in Loop: Header=BB9_66 Depth=1
	s_or_b64 exec, exec, s[2:3]
	s_waitcnt vmcnt(0)
	v_cvt_f32_f16_e32 v20, v2
	v_bfrev_b32_e32 v9, -2
	v_mul_f32_e32 v20, v40, v20
	v_rndne_f32_e32 v21, v20
	v_cmp_nle_f32_e32 vcc, s26, v21
	v_bfrev_b32_e32 v20, -2
	s_and_saveexec_b64 s[2:3], vcc
	s_cbranch_execz .LBB9_102
; %bb.99:                               ;   in Loop: Header=BB9_66 Depth=1
	v_cmp_nge_f32_e32 vcc, s27, v21
	v_bfrev_b32_e32 v20, 1
	s_and_saveexec_b64 s[4:5], vcc
; %bb.100:                              ;   in Loop: Header=BB9_66 Depth=1
	v_cvt_i32_f32_e32 v20, v21
; %bb.101:                              ;   in Loop: Header=BB9_66 Depth=1
	s_or_b64 exec, exec, s[4:5]
.LBB9_102:                              ;   in Loop: Header=BB9_66 Depth=1
	s_or_b64 exec, exec, s[2:3]
	v_cvt_f32_f16_sdwa v2, v2 dst_sel:DWORD dst_unused:UNUSED_PAD src0_sel:WORD_1
	v_mul_f32_e32 v2, v40, v2
	v_rndne_f32_e32 v2, v2
	v_cmp_nle_f32_e32 vcc, s26, v2
	s_and_saveexec_b64 s[2:3], vcc
	s_cbranch_execz .LBB9_106
; %bb.103:                              ;   in Loop: Header=BB9_66 Depth=1
	v_cmp_nge_f32_e32 vcc, s27, v2
	v_bfrev_b32_e32 v9, 1
	s_and_saveexec_b64 s[4:5], vcc
; %bb.104:                              ;   in Loop: Header=BB9_66 Depth=1
	v_cvt_i32_f32_e32 v9, v2
; %bb.105:                              ;   in Loop: Header=BB9_66 Depth=1
	s_or_b64 exec, exec, s[4:5]
.LBB9_106:                              ;   in Loop: Header=BB9_66 Depth=1
	s_or_b64 exec, exec, s[2:3]
	v_cvt_f32_f16_e32 v21, v3
	v_bfrev_b32_e32 v2, -2
	v_mul_f32_e32 v21, v40, v21
	v_rndne_f32_e32 v22, v21
	v_cmp_nle_f32_e32 vcc, s26, v22
	v_bfrev_b32_e32 v21, -2
	s_and_saveexec_b64 s[2:3], vcc
	s_cbranch_execz .LBB9_110
; %bb.107:                              ;   in Loop: Header=BB9_66 Depth=1
	v_cmp_nge_f32_e32 vcc, s27, v22
	v_bfrev_b32_e32 v21, 1
	s_and_saveexec_b64 s[4:5], vcc
; %bb.108:                              ;   in Loop: Header=BB9_66 Depth=1
	v_cvt_i32_f32_e32 v21, v22
; %bb.109:                              ;   in Loop: Header=BB9_66 Depth=1
	s_or_b64 exec, exec, s[4:5]
.LBB9_110:                              ;   in Loop: Header=BB9_66 Depth=1
	s_or_b64 exec, exec, s[2:3]
	v_cvt_f32_f16_sdwa v3, v3 dst_sel:DWORD dst_unused:UNUSED_PAD src0_sel:WORD_1
	v_mul_f32_e32 v3, v40, v3
	v_rndne_f32_e32 v3, v3
	v_cmp_nle_f32_e32 vcc, s26, v3
	s_and_saveexec_b64 s[2:3], vcc
	s_cbranch_execz .LBB9_114
; %bb.111:                              ;   in Loop: Header=BB9_66 Depth=1
	v_cmp_nge_f32_e32 vcc, s27, v3
	v_bfrev_b32_e32 v2, 1
	s_and_saveexec_b64 s[4:5], vcc
; %bb.112:                              ;   in Loop: Header=BB9_66 Depth=1
	v_cvt_i32_f32_e32 v2, v3
; %bb.113:                              ;   in Loop: Header=BB9_66 Depth=1
	s_or_b64 exec, exec, s[4:5]
.LBB9_114:                              ;   in Loop: Header=BB9_66 Depth=1
	s_or_b64 exec, exec, s[2:3]
	v_cvt_f32_f16_e32 v22, v4
	v_bfrev_b32_e32 v3, -2
	v_mul_f32_e32 v22, v40, v22
	v_rndne_f32_e32 v23, v22
	v_cmp_nle_f32_e32 vcc, s26, v23
	v_bfrev_b32_e32 v22, -2
	s_and_saveexec_b64 s[2:3], vcc
	s_cbranch_execz .LBB9_118
; %bb.115:                              ;   in Loop: Header=BB9_66 Depth=1
	v_cmp_nge_f32_e32 vcc, s27, v23
	v_bfrev_b32_e32 v22, 1
	s_and_saveexec_b64 s[4:5], vcc
; %bb.116:                              ;   in Loop: Header=BB9_66 Depth=1
	v_cvt_i32_f32_e32 v22, v23
; %bb.117:                              ;   in Loop: Header=BB9_66 Depth=1
	s_or_b64 exec, exec, s[4:5]
.LBB9_118:                              ;   in Loop: Header=BB9_66 Depth=1
	;; [unrolled: 34-line block ×3, first 2 shown]
	s_or_b64 exec, exec, s[2:3]
	v_cvt_f32_f16_sdwa v5, v5 dst_sel:DWORD dst_unused:UNUSED_PAD src0_sel:WORD_1
	v_mul_f32_e32 v5, v40, v5
	v_rndne_f32_e32 v5, v5
	v_cmp_nle_f32_e32 vcc, s26, v5
	s_and_saveexec_b64 s[2:3], vcc
	s_cbranch_execz .LBB9_65
; %bb.127:                              ;   in Loop: Header=BB9_66 Depth=1
	v_cmp_nge_f32_e32 vcc, s27, v5
	v_bfrev_b32_e32 v4, 1
	s_and_saveexec_b64 s[4:5], vcc
	s_cbranch_execz .LBB9_64
; %bb.128:                              ;   in Loop: Header=BB9_66 Depth=1
	v_cvt_i32_f32_e32 v4, v5
	s_branch .LBB9_64
.LBB9_129:
	s_or_b64 exec, exec, s[22:23]
	v_lshl_add_u32 v2, s38, 4, v0
	v_cmp_gt_i32_e32 vcc, s33, v2
	s_and_saveexec_b64 s[2:3], vcc
	s_cbranch_execz .LBB9_141
; %bb.130:
	v_cvt_f32_u32_e32 v1, s28
	v_add_u32_e32 v3, s28, v2
	v_mov_b32_e32 v4, s28
	s_sub_i32 s4, 0, s28
	v_rcp_iflag_f32_e32 v1, v1
	v_cmp_gt_i32_e32 vcc, s33, v3
	v_max_i32_e32 v5, s33, v3
	v_addc_co_u32_e64 v3, s[0:1], v2, v4, vcc
	v_mul_f32_e32 v1, 0x4f7ffffe, v1
	v_cvt_u32_f32_e32 v1, v1
	v_sub_u32_e32 v3, v5, v3
	s_cmp_eq_u32 s28, 1
	v_mul_lo_u32 v4, s4, v1
	v_mul_hi_u32 v4, v1, v4
	v_add_u32_e32 v1, v1, v4
	v_mul_hi_u32 v1, v3, v1
	v_mul_lo_u32 v4, v1, s28
	v_sub_u32_e32 v3, v3, v4
	v_add_u32_e32 v5, 1, v1
	v_cmp_le_u32_e64 s[0:1], s28, v3
	v_subrev_u32_e32 v4, s28, v3
	v_cndmask_b32_e64 v1, v1, v5, s[0:1]
	v_cndmask_b32_e64 v3, v3, v4, s[0:1]
	v_add_u32_e32 v4, 1, v1
	v_cmp_le_u32_e64 s[0:1], s28, v3
	v_cndmask_b32_e64 v1, v1, v4, s[0:1]
	v_addc_co_u32_e32 v1, vcc, 1, v1, vcc
	v_cmp_lt_u32_e32 vcc, 3, v1
	s_cselect_b64 s[0:1], -1, 0
	s_and_b64 s[6:7], vcc, s[0:1]
	s_mov_b64 s[4:5], -1
	s_and_saveexec_b64 s[0:1], s[6:7]
	s_cbranch_execz .LBB9_134
; %bb.131:
	v_and_b32_e32 v3, -4, v1
	v_mov_b32_e32 v41, v40
	s_mov_b64 s[4:5], 0
	v_mov_b32_e32 v8, s37
	v_mov_b32_e32 v9, s36
	;; [unrolled: 1-line block ×4, first 2 shown]
	s_mov_b32 s6, 0x4f000000
	s_mov_b32 s7, 0xcf000000
	v_mov_b32_e32 v10, 0xcf000000
	v_bfrev_b32_e32 v11, -2
	s_movk_i32 s22, 0xff80
	v_mov_b32_e32 v12, 0x7f
	v_mov_b32_e32 v6, v2
	;; [unrolled: 1-line block ×3, first 2 shown]
.LBB9_132:                              ; =>This Inner Loop Header: Depth=1
	v_ashrrev_i32_e32 v7, 31, v6
	v_lshlrev_b64 v[14:15], 1, v[6:7]
	v_add_co_u32_e32 v14, vcc, s34, v14
	v_addc_co_u32_e32 v15, vcc, v9, v15, vcc
	global_load_dwordx2 v[14:15], v[14:15], off
	v_add_co_u32_e32 v16, vcc, s35, v6
	v_add_u32_e32 v13, -4, v13
	v_addc_co_u32_e32 v17, vcc, v8, v7, vcc
	v_cmp_eq_u32_e32 vcc, 0, v13
	s_or_b64 s[4:5], vcc, s[4:5]
	v_add_u32_e32 v6, 4, v6
	s_waitcnt vmcnt(0)
	v_cvt_f32_f16_e32 v18, v15
	v_cvt_f32_f16_sdwa v19, v15 dst_sel:DWORD dst_unused:UNUSED_PAD src0_sel:WORD_1
	v_cvt_f32_f16_e32 v20, v14
	v_cvt_f32_f16_sdwa v21, v14 dst_sel:DWORD dst_unused:UNUSED_PAD src0_sel:WORD_1
	v_pk_mul_f32 v[18:19], v[4:5], v[18:19]
	v_rndne_f32_e32 v7, v18
	v_pk_mul_f32 v[14:15], v[40:41], v[20:21]
	v_rndne_f32_e32 v18, v19
	v_cmp_nge_f32_e32 vcc, s7, v7
	v_rndne_f32_e32 v14, v14
	v_cndmask_b32_e32 v19, v10, v7, vcc
	v_cmp_nge_f32_e32 vcc, s7, v18
	v_rndne_f32_e32 v15, v15
	v_cndmask_b32_e32 v20, v10, v18, vcc
	v_cmp_nge_f32_e32 vcc, s7, v14
	v_cvt_i32_f32_e32 v19, v19
	v_cndmask_b32_e32 v21, v10, v14, vcc
	v_cmp_nge_f32_e32 vcc, s7, v15
	v_cvt_i32_f32_e32 v20, v20
	v_cndmask_b32_e32 v22, v10, v15, vcc
	v_cvt_i32_f32_e32 v21, v21
	v_cvt_i32_f32_e32 v22, v22
	v_cmp_nle_f32_e32 vcc, s6, v7
	v_cndmask_b32_e32 v7, v11, v19, vcc
	v_cmp_nle_f32_e32 vcc, s6, v18
	v_cndmask_b32_e32 v18, v11, v20, vcc
	;; [unrolled: 2-line block ×4, first 2 shown]
	v_add_u32_e32 v15, v15, v38
	v_add_u32_e32 v18, v18, v38
	;; [unrolled: 1-line block ×4, first 2 shown]
	v_med3_i32 v18, v18, s22, v12
	v_med3_i32 v15, v15, s22, v12
	v_med3_i32 v7, v7, s22, v12
	v_med3_i32 v14, v14, s22, v12
	v_lshlrev_b16_e32 v15, 8, v15
	v_lshlrev_b16_e32 v18, 8, v18
	v_or_b32_sdwa v14, v14, v15 dst_sel:DWORD dst_unused:UNUSED_PAD src0_sel:BYTE_0 src1_sel:DWORD
	v_or_b32_sdwa v7, v7, v18 dst_sel:WORD_1 dst_unused:UNUSED_PAD src0_sel:BYTE_0 src1_sel:DWORD
	v_or_b32_sdwa v7, v14, v7 dst_sel:DWORD dst_unused:UNUSED_PAD src0_sel:WORD_0 src1_sel:DWORD
	global_store_dword v[16:17], v7, off
	s_andn2_b64 exec, exec, s[4:5]
	s_cbranch_execnz .LBB9_132
; %bb.133:
	s_or_b64 exec, exec, s[4:5]
	v_cmp_ne_u32_e32 vcc, v1, v3
	v_add_u32_e32 v2, v2, v3
	s_orn2_b64 s[4:5], vcc, exec
.LBB9_134:
	s_or_b64 exec, exec, s[0:1]
	s_and_b64 exec, exec, s[4:5]
	s_cbranch_execz .LBB9_141
; %bb.135:
	s_add_u32 s0, s10, s20
	s_addc_u32 s1, s11, s21
	v_ashrrev_i32_e32 v3, 31, v2
	s_add_u32 s0, s8, s0
	v_lshlrev_b64 v[4:5], 1, v[2:3]
	s_addc_u32 s1, s9, s1
	s_lshl_b32 s20, s28, 1
	v_add_co_u32_e32 v4, vcc, s0, v4
	s_add_u32 s0, s18, s12
	v_mov_b32_e32 v1, s1
	s_addc_u32 s1, s19, s13
	s_add_u32 s0, s14, s0
	v_addc_co_u32_e32 v5, vcc, v1, v5, vcc
	s_addc_u32 s1, s15, s1
	s_mov_b32 s4, 0
	v_mov_b32_e32 v6, s1
	v_add_co_u32_e32 v1, vcc, s0, v2
	v_addc_co_u32_e32 v3, vcc, v6, v3, vcc
	s_mov_b64 s[0:1], 0
	s_mov_b32 s21, 0x4f000000
	s_mov_b32 s22, 0xcf000000
	s_movk_i32 s23, 0xff80
	v_mov_b32_e32 v6, 0x7f
	v_mov_b32_e32 v7, s4
	s_mov_b64 s[4:5], 0
	s_branch .LBB9_138
.LBB9_136:                              ;   in Loop: Header=BB9_138 Depth=1
	s_or_b64 exec, exec, s[18:19]
.LBB9_137:                              ;   in Loop: Header=BB9_138 Depth=1
	s_or_b64 exec, exec, s[6:7]
	v_mov_b32_e32 v9, s5
	v_add_co_u32_e32 v10, vcc, s4, v1
	v_add_u32_e32 v8, v8, v38
	v_addc_co_u32_e32 v11, vcc, v3, v9, vcc
	v_med3_i32 v8, v8, s23, v6
	s_add_u32 s4, s4, s28
	global_store_byte v[10:11], v8, off
	v_add_u32_e32 v8, s4, v2
	s_addc_u32 s5, s5, 0
	v_cmp_le_i32_e32 vcc, s33, v8
	s_or_b64 s[0:1], vcc, s[0:1]
	v_add_co_u32_e32 v4, vcc, s20, v4
	v_addc_co_u32_e32 v5, vcc, v5, v7, vcc
	s_andn2_b64 exec, exec, s[0:1]
	s_cbranch_execz .LBB9_141
.LBB9_138:                              ; =>This Inner Loop Header: Depth=1
	global_load_ushort v8, v[4:5], off
	s_waitcnt vmcnt(0)
	v_cvt_f32_f16_e32 v8, v8
	v_mul_f32_e32 v8, v40, v8
	v_rndne_f32_e32 v9, v8
	v_cmp_nle_f32_e32 vcc, s21, v9
	v_bfrev_b32_e32 v8, -2
	s_and_saveexec_b64 s[6:7], vcc
	s_cbranch_execz .LBB9_137
; %bb.139:                              ;   in Loop: Header=BB9_138 Depth=1
	v_cmp_nge_f32_e32 vcc, s22, v9
	v_bfrev_b32_e32 v8, 1
	s_and_saveexec_b64 s[18:19], vcc
	s_cbranch_execz .LBB9_136
; %bb.140:                              ;   in Loop: Header=BB9_138 Depth=1
	v_cvt_i32_f32_e32 v8, v9
	s_branch .LBB9_136
.LBB9_141:
	s_or_b64 exec, exec, s[2:3]
	s_mov_b64 s[2:3], 0
.LBB9_142:
	s_and_b64 vcc, exec, s[2:3]
	s_cbranch_vccz .LBB9_215
; %bb.143:
	s_ashr_i32 s22, s31, 4
	v_cmp_gt_i32_e32 vcc, s22, v0
	s_and_saveexec_b64 s[0:1], vcc
	s_cbranch_execz .LBB9_215
; %bb.144:
	v_cvt_f32_u32_e32 v1, s28
	v_add_u32_e32 v2, s28, v0
	v_mov_b32_e32 v3, s28
	s_sub_i32 s2, 0, s28
	v_rcp_iflag_f32_e32 v1, v1
	v_cmp_gt_i32_e32 vcc, s22, v2
	v_max_i32_e32 v4, s22, v2
	v_addc_co_u32_e64 v2, s[0:1], v0, v3, vcc
	v_mul_f32_e32 v1, 0x4f7ffffe, v1
	v_cvt_u32_f32_e32 v1, v1
	v_sub_u32_e32 v2, v4, v2
	s_cmp_eq_u32 s28, 1
	v_mul_lo_u32 v3, s2, v1
	v_mul_hi_u32 v3, v1, v3
	v_add_u32_e32 v1, v1, v3
	v_mul_hi_u32 v1, v2, v1
	v_mul_lo_u32 v3, v1, s28
	v_sub_u32_e32 v2, v2, v3
	v_add_u32_e32 v4, 1, v1
	v_cmp_le_u32_e64 s[0:1], s28, v2
	v_subrev_u32_e32 v3, s28, v2
	v_cndmask_b32_e64 v1, v1, v4, s[0:1]
	v_cndmask_b32_e64 v2, v2, v3, s[0:1]
	v_add_u32_e32 v3, 1, v1
	v_cmp_le_u32_e64 s[0:1], s28, v2
	v_cndmask_b32_e64 v1, v1, v3, s[0:1]
	v_addc_co_u32_e32 v39, vcc, 1, v1, vcc
	v_cmp_lt_u32_e32 vcc, 3, v39
	s_cselect_b64 s[0:1], -1, 0
	s_and_b64 s[2:3], vcc, s[0:1]
	s_mov_b64 s[0:1], -1
	s_and_saveexec_b64 s[18:19], s[2:3]
	s_cbranch_execz .LBB9_148
; %bb.145:
	v_add_u32_e32 v3, 3, v0
	v_add_u32_e32 v2, 2, v0
	v_and_b32_e32 v52, -4, v39
	v_add_u32_e32 v1, 1, v0
	v_pk_mov_b32 v[4:5], v[2:3], v[2:3] op_sel:[0,1]
	v_mov_b32_e32 v41, v40
	s_mov_b64 s[20:21], 0
	v_mov_b32_e32 v53, s30
	v_mov_b32_e32 v42, v40
	;; [unrolled: 1-line block ×3, first 2 shown]
	s_mov_b32 s23, 0x4f000000
	s_mov_b32 s24, 0xcf000000
	v_mov_b32_e32 v54, 0xcf000000
	v_bfrev_b32_e32 v55, -2
	s_movk_i32 s25, 0xff80
	v_mov_b32_e32 v56, 0x7f
	v_mov_b32_e32 v57, s17
	;; [unrolled: 1-line block ×4, first 2 shown]
	v_pk_mov_b32 v[2:3], v[0:1], v[0:1] op_sel:[0,1]
.LBB9_146:                              ; =>This Inner Loop Header: Depth=1
	v_mov_b32_e32 v44, v2
	v_lshlrev_b64 v[6:7], 5, v[44:45]
	v_add_co_u32_e32 v18, vcc, s29, v6
	v_mov_b32_e32 v46, v3
	v_mov_b32_e32 v47, v45
	v_addc_co_u32_e32 v19, vcc, v53, v7, vcc
	v_lshlrev_b64 v[6:7], 5, v[46:47]
	v_add_co_u32_e32 v20, vcc, s29, v6
	v_mov_b32_e32 v48, v4
	v_mov_b32_e32 v49, v45
	v_addc_co_u32_e32 v21, vcc, v53, v7, vcc
	;; [unrolled: 5-line block ×3, first 2 shown]
	v_lshlrev_b64 v[6:7], 5, v[50:51]
	v_add_co_u32_e32 v62, vcc, s29, v6
	v_addc_co_u32_e32 v63, vcc, v53, v7, vcc
	global_load_dwordx4 v[22:25], v[18:19], off
	global_load_dwordx4 v[26:29], v[20:21], off
	;; [unrolled: 1-line block ×4, first 2 shown]
	global_load_dwordx4 v[6:9], v[18:19], off offset:16
	global_load_dwordx4 v[10:13], v[20:21], off offset:16
	;; [unrolled: 1-line block ×3, first 2 shown]
                                        ; kill: killed $vgpr18 killed $vgpr19
                                        ; kill: killed $vgpr60 killed $vgpr61
                                        ; kill: killed $vgpr20 killed $vgpr21
	s_nop 0
	global_load_dwordx4 v[18:21], v[62:63], off offset:16
	v_lshlrev_b64 v[46:47], 4, v[46:47]
	v_lshlrev_b64 v[48:49], 4, v[48:49]
	;; [unrolled: 1-line block ×3, first 2 shown]
	v_add_u32_e32 v58, -4, v58
	v_add_u32_e32 v5, 4, v5
	v_add_u32_e32 v4, 4, v4
	;; [unrolled: 1-line block ×4, first 2 shown]
	s_waitcnt vmcnt(7)
	v_cvt_f32_f16_e32 v62, v22
	s_waitcnt vmcnt(6)
	v_cvt_f32_f16_e32 v63, v26
	;; [unrolled: 2-line block ×4, first 2 shown]
	v_cvt_f32_f16_sdwa v65, v27 dst_sel:DWORD dst_unused:UNUSED_PAD src0_sel:WORD_1
	v_pk_mul_f32 v[62:63], v[40:41], v[62:63]
	v_cvt_f32_f16_sdwa v67, v29 dst_sel:DWORD dst_unused:UNUSED_PAD src0_sel:WORD_1
	v_pk_mul_f32 v[60:61], v[42:43], v[60:61]
	v_rndne_f32_e32 v1, v60
	v_rndne_f32_e32 v59, v61
	v_cmp_nge_f32_e64 s[6:7], s24, v1
	v_rndne_f32_e32 v60, v62
	v_cmp_nle_f32_e64 s[4:5], s23, v1
	v_cndmask_b32_e64 v1, v54, v1, s[6:7]
	v_cmp_nge_f32_e64 s[6:7], s24, v59
	v_rndne_f32_e32 v61, v63
	v_cmp_nle_f32_e64 s[2:3], s23, v59
	v_cndmask_b32_e64 v59, v54, v59, s[6:7]
	v_cmp_nge_f32_e64 s[6:7], s24, v60
	v_cmp_nle_f32_e64 s[0:1], s23, v60
	v_cndmask_b32_e64 v60, v54, v60, s[6:7]
	v_cmp_nge_f32_e64 s[6:7], s24, v61
	v_cmp_nle_f32_e32 vcc, s23, v61
	v_cndmask_b32_e64 v61, v54, v61, s[6:7]
	v_cvt_i32_f32_e32 v61, v61
	v_cvt_i32_f32_e32 v60, v60
	;; [unrolled: 1-line block ×3, first 2 shown]
	v_cvt_f32_f16_sdwa v63, v26 dst_sel:DWORD dst_unused:UNUSED_PAD src0_sel:WORD_1
	v_cndmask_b32_e32 v61, v55, v61, vcc
	v_cndmask_b32_e64 v60, v55, v60, s[0:1]
	v_cndmask_b32_e64 v59, v55, v59, s[2:3]
	v_add_u32_e32 v61, v61, v38
	v_add_u32_e32 v60, v60, v38
	v_add_u32_e32 v59, v59, v38
	v_med3_i32 v64, v59, s25, v56
	v_med3_i32 v59, v60, s25, v56
	;; [unrolled: 1-line block ×3, first 2 shown]
	v_lshlrev_b16_e32 v60, 8, v60
	v_or_b32_sdwa v59, v59, v60 dst_sel:DWORD dst_unused:UNUSED_PAD src0_sel:BYTE_0 src1_sel:DWORD
	v_cvt_f32_f16_sdwa v61, v34 dst_sel:DWORD dst_unused:UNUSED_PAD src0_sel:WORD_1
	v_cvt_f32_f16_sdwa v60, v30 dst_sel:DWORD dst_unused:UNUSED_PAD src0_sel:WORD_1
	;; [unrolled: 1-line block ×3, first 2 shown]
	v_cvt_i32_f32_e32 v1, v1
	s_waitcnt vmcnt(2)
	v_cvt_f32_f16_sdwa v69, v11 dst_sel:DWORD dst_unused:UNUSED_PAD src0_sel:WORD_1
	v_pk_mul_f32 v[60:61], v[42:43], v[60:61]
	v_pk_mul_f32 v[62:63], v[40:41], v[62:63]
	v_rndne_f32_e32 v22, v60
	v_rndne_f32_e32 v26, v62
	v_cmp_nge_f32_e64 s[6:7], s24, v22
	v_cndmask_b32_e64 v1, v55, v1, s[4:5]
	v_rndne_f32_e32 v30, v63
	v_cmp_nle_f32_e64 s[4:5], s23, v22
	v_cndmask_b32_e64 v22, v54, v22, s[6:7]
	v_cmp_nge_f32_e64 s[6:7], s24, v26
	v_cmp_nle_f32_e64 s[2:3], s23, v26
	v_cndmask_b32_e64 v26, v54, v26, s[6:7]
	v_cmp_nge_f32_e64 s[6:7], s24, v30
	v_cmp_nle_f32_e64 s[0:1], s23, v30
	v_cndmask_b32_e64 v30, v54, v30, s[6:7]
	v_cvt_i32_f32_e32 v30, v30
	v_cvt_i32_f32_e32 v26, v26
	v_rndne_f32_e32 v34, v61
	v_cmp_nge_f32_e64 s[6:7], s24, v34
	v_cndmask_b32_e64 v30, v55, v30, s[0:1]
	v_cndmask_b32_e64 v26, v55, v26, s[2:3]
	v_add_u32_e32 v30, v30, v38
	v_cmp_nle_f32_e32 vcc, s23, v34
	v_cndmask_b32_e64 v34, v54, v34, s[6:7]
	v_add_u32_e32 v60, v26, v38
	v_med3_i32 v30, v30, s25, v56
	v_cvt_i32_f32_e32 v34, v34
	v_cvt_i32_f32_e32 v22, v22
	v_med3_i32 v60, v60, s25, v56
	v_lshlrev_b16_e32 v30, 8, v30
	v_or_b32_sdwa v30, v60, v30 dst_sel:DWORD dst_unused:UNUSED_PAD src0_sel:BYTE_0 src1_sel:DWORD
	v_cvt_f32_f16_e32 v61, v35
	v_cvt_f32_f16_e32 v60, v31
	;; [unrolled: 1-line block ×4, first 2 shown]
	v_cndmask_b32_e64 v22, v55, v22, s[4:5]
	v_cndmask_b32_e32 v34, v55, v34, vcc
	v_add_u32_e32 v34, v34, v38
	v_add_u32_e32 v22, v22, v38
	v_pk_mul_f32 v[60:61], v[42:43], v[60:61]
	v_med3_i32 v26, v22, s25, v56
	v_med3_i32 v22, v34, s25, v56
	v_rndne_f32_e32 v34, v60
	v_pk_mul_f32 v[62:63], v[40:41], v[62:63]
	v_rndne_f32_e32 v60, v61
	v_cmp_nge_f32_e64 s[6:7], s24, v34
	v_rndne_f32_e32 v61, v62
	v_cmp_nle_f32_e64 s[4:5], s23, v34
	v_cndmask_b32_e64 v34, v54, v34, s[6:7]
	v_cmp_nge_f32_e64 s[6:7], s24, v60
	v_rndne_f32_e32 v62, v63
	v_cmp_nle_f32_e64 s[2:3], s23, v60
	v_cndmask_b32_e64 v60, v54, v60, s[6:7]
	v_cmp_nge_f32_e64 s[6:7], s24, v61
	v_cmp_nle_f32_e64 s[0:1], s23, v61
	v_cndmask_b32_e64 v61, v54, v61, s[6:7]
	v_cmp_nge_f32_e64 s[6:7], s24, v62
	v_cmp_nle_f32_e32 vcc, s23, v62
	v_cndmask_b32_e64 v62, v54, v62, s[6:7]
	v_cvt_i32_f32_e32 v62, v62
	v_cvt_i32_f32_e32 v61, v61
	;; [unrolled: 1-line block ×3, first 2 shown]
	v_lshlrev_b16_e32 v22, 8, v22
	v_cndmask_b32_e32 v62, v55, v62, vcc
	v_cndmask_b32_e64 v61, v55, v61, s[0:1]
	v_cndmask_b32_e64 v60, v55, v60, s[2:3]
	v_add_u32_e32 v62, v62, v38
	v_add_u32_e32 v61, v61, v38
	;; [unrolled: 1-line block ×3, first 2 shown]
	v_med3_i32 v66, v60, s25, v56
	v_med3_i32 v60, v61, s25, v56
	v_med3_i32 v61, v62, s25, v56
	v_cvt_f32_f16_sdwa v63, v35 dst_sel:DWORD dst_unused:UNUSED_PAD src0_sel:WORD_1
	v_cvt_f32_f16_sdwa v62, v31 dst_sel:DWORD dst_unused:UNUSED_PAD src0_sel:WORD_1
	v_or_b32_sdwa v22, v64, v22 dst_sel:DWORD dst_unused:UNUSED_PAD src0_sel:BYTE_0 src1_sel:DWORD
	v_cvt_f32_f16_sdwa v64, v23 dst_sel:DWORD dst_unused:UNUSED_PAD src0_sel:WORD_1
	v_cvt_i32_f32_e32 v34, v34
	v_pk_mul_f32 v[62:63], v[42:43], v[62:63]
	v_rndne_f32_e32 v23, v62
	v_pk_mul_f32 v[64:65], v[40:41], v[64:65]
	v_rndne_f32_e32 v27, v64
	v_cmp_nge_f32_e64 s[6:7], s24, v23
	v_cndmask_b32_e64 v34, v55, v34, s[4:5]
	v_rndne_f32_e32 v31, v65
	v_cmp_nle_f32_e64 s[4:5], s23, v23
	v_cndmask_b32_e64 v23, v54, v23, s[6:7]
	v_cmp_nge_f32_e64 s[6:7], s24, v27
	v_rndne_f32_e32 v35, v63
	v_cmp_nle_f32_e64 s[2:3], s23, v27
	v_cndmask_b32_e64 v27, v54, v27, s[6:7]
	v_cmp_nge_f32_e64 s[6:7], s24, v31
	v_cmp_nle_f32_e64 s[0:1], s23, v31
	v_cndmask_b32_e64 v31, v54, v31, s[6:7]
	v_cmp_nge_f32_e64 s[6:7], s24, v35
	v_cmp_nle_f32_e32 vcc, s23, v35
	v_cndmask_b32_e64 v35, v54, v35, s[6:7]
	v_cvt_i32_f32_e32 v31, v31
	v_cvt_i32_f32_e32 v35, v35
	;; [unrolled: 1-line block ×4, first 2 shown]
	v_cvt_f32_f16_e32 v63, v36
	v_cvt_f32_f16_e32 v62, v32
	v_cndmask_b32_e64 v31, v55, v31, s[0:1]
	v_cvt_f32_f16_e32 v65, v28
	v_cvt_f32_f16_e32 v64, v24
	v_lshlrev_b16_e32 v61, 8, v61
	v_cndmask_b32_e64 v23, v55, v23, s[4:5]
	v_cndmask_b32_e64 v27, v55, v27, s[2:3]
	v_cndmask_b32_e32 v35, v55, v35, vcc
	v_add_u32_e32 v31, v31, v38
	v_or_b32_sdwa v60, v60, v61 dst_sel:DWORD dst_unused:UNUSED_PAD src0_sel:BYTE_0 src1_sel:DWORD
	v_add_u32_e32 v35, v35, v38
	v_add_u32_e32 v61, v27, v38
	;; [unrolled: 1-line block ×3, first 2 shown]
	v_med3_i32 v31, v31, s25, v56
	v_pk_mul_f32 v[62:63], v[42:43], v[62:63]
	v_med3_i32 v27, v23, s25, v56
	v_med3_i32 v61, v61, s25, v56
	;; [unrolled: 1-line block ×3, first 2 shown]
	v_lshlrev_b16_e32 v31, 8, v31
	v_rndne_f32_e32 v35, v62
	v_or_b32_sdwa v31, v61, v31 dst_sel:DWORD dst_unused:UNUSED_PAD src0_sel:BYTE_0 src1_sel:DWORD
	v_pk_mul_f32 v[64:65], v[40:41], v[64:65]
	v_rndne_f32_e32 v61, v63
	v_cmp_nge_f32_e64 s[6:7], s24, v35
	v_rndne_f32_e32 v62, v64
	v_cmp_nle_f32_e64 s[4:5], s23, v35
	v_cndmask_b32_e64 v35, v54, v35, s[6:7]
	v_cmp_nge_f32_e64 s[6:7], s24, v61
	v_rndne_f32_e32 v63, v65
	v_cmp_nle_f32_e64 s[2:3], s23, v61
	v_cndmask_b32_e64 v61, v54, v61, s[6:7]
	v_cmp_nge_f32_e64 s[6:7], s24, v62
	v_cmp_nle_f32_e64 s[0:1], s23, v62
	v_cndmask_b32_e64 v62, v54, v62, s[6:7]
	v_cmp_nge_f32_e64 s[6:7], s24, v63
	v_cmp_nle_f32_e32 vcc, s23, v63
	v_cndmask_b32_e64 v63, v54, v63, s[6:7]
	v_cvt_i32_f32_e32 v63, v63
	v_cvt_i32_f32_e32 v62, v62
	;; [unrolled: 1-line block ×3, first 2 shown]
	v_lshlrev_b16_e32 v23, 8, v23
	v_cndmask_b32_e32 v63, v55, v63, vcc
	v_cndmask_b32_e64 v62, v55, v62, s[0:1]
	v_cndmask_b32_e64 v61, v55, v61, s[2:3]
	v_add_u32_e32 v63, v63, v38
	v_add_u32_e32 v62, v62, v38
	;; [unrolled: 1-line block ×3, first 2 shown]
	v_or_b32_sdwa v23, v66, v23 dst_sel:WORD_1 dst_unused:UNUSED_PAD src0_sel:BYTE_0 src1_sel:DWORD
	v_med3_i32 v66, v61, s25, v56
	v_med3_i32 v61, v62, s25, v56
	;; [unrolled: 1-line block ×3, first 2 shown]
	v_lshlrev_b16_e32 v62, 8, v62
	v_or_b32_sdwa v61, v61, v62 dst_sel:DWORD dst_unused:UNUSED_PAD src0_sel:BYTE_0 src1_sel:DWORD
	v_cvt_f32_f16_sdwa v63, v36 dst_sel:DWORD dst_unused:UNUSED_PAD src0_sel:WORD_1
	v_cvt_f32_f16_sdwa v62, v32 dst_sel:DWORD dst_unused:UNUSED_PAD src0_sel:WORD_1
	;; [unrolled: 1-line block ×4, first 2 shown]
	v_cvt_i32_f32_e32 v35, v35
	v_pk_mul_f32 v[62:63], v[42:43], v[62:63]
	v_rndne_f32_e32 v24, v62
	v_pk_mul_f32 v[64:65], v[40:41], v[64:65]
	v_rndne_f32_e32 v28, v64
	v_cmp_nge_f32_e64 s[6:7], s24, v24
	v_cndmask_b32_e64 v35, v55, v35, s[4:5]
	v_rndne_f32_e32 v32, v65
	v_cmp_nle_f32_e64 s[4:5], s23, v24
	v_cndmask_b32_e64 v24, v54, v24, s[6:7]
	v_cmp_nge_f32_e64 s[6:7], s24, v28
	v_cmp_nle_f32_e64 s[2:3], s23, v28
	v_cndmask_b32_e64 v28, v54, v28, s[6:7]
	v_cmp_nge_f32_e64 s[6:7], s24, v32
	v_cmp_nle_f32_e64 s[0:1], s23, v32
	v_cndmask_b32_e64 v32, v54, v32, s[6:7]
	v_cvt_i32_f32_e32 v32, v32
	v_cvt_i32_f32_e32 v28, v28
	v_rndne_f32_e32 v36, v63
	v_cmp_nge_f32_e64 s[6:7], s24, v36
	v_cndmask_b32_e64 v32, v55, v32, s[0:1]
	v_cndmask_b32_e64 v28, v55, v28, s[2:3]
	v_add_u32_e32 v32, v32, v38
	v_cmp_nle_f32_e32 vcc, s23, v36
	v_cndmask_b32_e64 v36, v54, v36, s[6:7]
	v_add_u32_e32 v62, v28, v38
	v_med3_i32 v32, v32, s25, v56
	v_cvt_i32_f32_e32 v36, v36
	v_cvt_i32_f32_e32 v24, v24
	v_med3_i32 v62, v62, s25, v56
	v_lshlrev_b16_e32 v32, 8, v32
	v_or_b32_sdwa v32, v62, v32 dst_sel:DWORD dst_unused:UNUSED_PAD src0_sel:BYTE_0 src1_sel:DWORD
	v_cvt_f32_f16_e32 v63, v37
	v_cvt_f32_f16_e32 v62, v33
	;; [unrolled: 1-line block ×4, first 2 shown]
	v_cndmask_b32_e64 v24, v55, v24, s[4:5]
	v_cndmask_b32_e32 v36, v55, v36, vcc
	v_add_u32_e32 v36, v36, v38
	v_add_u32_e32 v24, v24, v38
	v_pk_mul_f32 v[62:63], v[42:43], v[62:63]
	v_med3_i32 v28, v24, s25, v56
	v_med3_i32 v24, v36, s25, v56
	v_rndne_f32_e32 v36, v62
	v_pk_mul_f32 v[64:65], v[40:41], v[64:65]
	v_rndne_f32_e32 v62, v63
	v_cmp_nge_f32_e64 s[6:7], s24, v36
	v_rndne_f32_e32 v63, v64
	v_cmp_nle_f32_e64 s[4:5], s23, v36
	v_cndmask_b32_e64 v36, v54, v36, s[6:7]
	v_cmp_nge_f32_e64 s[6:7], s24, v62
	v_rndne_f32_e32 v64, v65
	v_cmp_nle_f32_e64 s[2:3], s23, v62
	v_cndmask_b32_e64 v62, v54, v62, s[6:7]
	v_cmp_nge_f32_e64 s[6:7], s24, v63
	v_cmp_nle_f32_e64 s[0:1], s23, v63
	v_cndmask_b32_e64 v63, v54, v63, s[6:7]
	v_cmp_nge_f32_e64 s[6:7], s24, v64
	v_cmp_nle_f32_e32 vcc, s23, v64
	v_cndmask_b32_e64 v64, v54, v64, s[6:7]
	v_cvt_i32_f32_e32 v64, v64
	v_cvt_i32_f32_e32 v63, v63
	;; [unrolled: 1-line block ×3, first 2 shown]
	v_lshlrev_b16_e32 v24, 8, v24
	v_cndmask_b32_e32 v64, v55, v64, vcc
	v_cndmask_b32_e64 v63, v55, v63, s[0:1]
	v_cndmask_b32_e64 v62, v55, v62, s[2:3]
	v_add_u32_e32 v64, v64, v38
	v_add_u32_e32 v63, v63, v38
	;; [unrolled: 1-line block ×3, first 2 shown]
	v_med3_i32 v68, v62, s25, v56
	v_med3_i32 v62, v63, s25, v56
	;; [unrolled: 1-line block ×3, first 2 shown]
	v_cvt_f32_f16_sdwa v65, v37 dst_sel:DWORD dst_unused:UNUSED_PAD src0_sel:WORD_1
	v_cvt_f32_f16_sdwa v64, v33 dst_sel:DWORD dst_unused:UNUSED_PAD src0_sel:WORD_1
	v_or_b32_sdwa v24, v66, v24 dst_sel:DWORD dst_unused:UNUSED_PAD src0_sel:BYTE_0 src1_sel:DWORD
	v_cvt_f32_f16_sdwa v66, v25 dst_sel:DWORD dst_unused:UNUSED_PAD src0_sel:WORD_1
	v_cvt_i32_f32_e32 v36, v36
	v_pk_mul_f32 v[64:65], v[42:43], v[64:65]
	v_rndne_f32_e32 v25, v64
	v_pk_mul_f32 v[66:67], v[40:41], v[66:67]
	v_rndne_f32_e32 v29, v66
	v_cmp_nge_f32_e64 s[6:7], s24, v25
	v_cndmask_b32_e64 v36, v55, v36, s[4:5]
	v_rndne_f32_e32 v33, v67
	v_cmp_nle_f32_e64 s[4:5], s23, v25
	v_cndmask_b32_e64 v25, v54, v25, s[6:7]
	v_cmp_nge_f32_e64 s[6:7], s24, v29
	v_rndne_f32_e32 v37, v65
	v_cmp_nle_f32_e64 s[2:3], s23, v29
	v_cndmask_b32_e64 v29, v54, v29, s[6:7]
	v_cmp_nge_f32_e64 s[6:7], s24, v33
	v_cmp_nle_f32_e64 s[0:1], s23, v33
	v_cndmask_b32_e64 v33, v54, v33, s[6:7]
	v_cmp_nge_f32_e64 s[6:7], s24, v37
	v_cmp_nle_f32_e32 vcc, s23, v37
	v_cndmask_b32_e64 v37, v54, v37, s[6:7]
	v_cvt_i32_f32_e32 v33, v33
	v_cvt_i32_f32_e32 v37, v37
	;; [unrolled: 1-line block ×4, first 2 shown]
	s_waitcnt vmcnt(0)
	v_cvt_f32_f16_e32 v65, v18
	v_cvt_f32_f16_e32 v64, v14
	v_cndmask_b32_e64 v33, v55, v33, s[0:1]
	v_cvt_f32_f16_e32 v67, v10
	v_cvt_f32_f16_e32 v66, v6
	v_lshlrev_b16_e32 v63, 8, v63
	v_cndmask_b32_e64 v25, v55, v25, s[4:5]
	v_cndmask_b32_e64 v29, v55, v29, s[2:3]
	v_cndmask_b32_e32 v37, v55, v37, vcc
	v_add_u32_e32 v33, v33, v38
	v_or_b32_sdwa v62, v62, v63 dst_sel:DWORD dst_unused:UNUSED_PAD src0_sel:BYTE_0 src1_sel:DWORD
	v_add_u32_e32 v37, v37, v38
	v_add_u32_e32 v63, v29, v38
	;; [unrolled: 1-line block ×3, first 2 shown]
	v_med3_i32 v33, v33, s25, v56
	v_pk_mul_f32 v[64:65], v[42:43], v[64:65]
	v_med3_i32 v29, v25, s25, v56
	v_med3_i32 v63, v63, s25, v56
	;; [unrolled: 1-line block ×3, first 2 shown]
	v_lshlrev_b16_e32 v33, 8, v33
	v_rndne_f32_e32 v37, v64
	v_or_b32_sdwa v33, v63, v33 dst_sel:DWORD dst_unused:UNUSED_PAD src0_sel:BYTE_0 src1_sel:DWORD
	v_pk_mul_f32 v[66:67], v[40:41], v[66:67]
	v_rndne_f32_e32 v63, v65
	v_cmp_nge_f32_e64 s[6:7], s24, v37
	v_rndne_f32_e32 v64, v66
	v_cmp_nle_f32_e64 s[4:5], s23, v37
	v_cndmask_b32_e64 v37, v54, v37, s[6:7]
	v_cmp_nge_f32_e64 s[6:7], s24, v63
	v_rndne_f32_e32 v65, v67
	v_cmp_nle_f32_e64 s[2:3], s23, v63
	v_cndmask_b32_e64 v63, v54, v63, s[6:7]
	v_cmp_nge_f32_e64 s[6:7], s24, v64
	v_cmp_nle_f32_e64 s[0:1], s23, v64
	v_cndmask_b32_e64 v64, v54, v64, s[6:7]
	v_cmp_nge_f32_e64 s[6:7], s24, v65
	v_cmp_nle_f32_e32 vcc, s23, v65
	v_cndmask_b32_e64 v65, v54, v65, s[6:7]
	v_cvt_i32_f32_e32 v65, v65
	v_cvt_i32_f32_e32 v64, v64
	;; [unrolled: 1-line block ×3, first 2 shown]
	v_lshlrev_b16_e32 v25, 8, v25
	v_cndmask_b32_e32 v65, v55, v65, vcc
	v_cndmask_b32_e64 v64, v55, v64, s[0:1]
	v_cndmask_b32_e64 v63, v55, v63, s[2:3]
	v_add_u32_e32 v65, v65, v38
	v_add_u32_e32 v64, v64, v38
	;; [unrolled: 1-line block ×3, first 2 shown]
	v_or_b32_sdwa v25, v68, v25 dst_sel:WORD_1 dst_unused:UNUSED_PAD src0_sel:BYTE_0 src1_sel:DWORD
	v_med3_i32 v68, v63, s25, v56
	v_med3_i32 v63, v64, s25, v56
	;; [unrolled: 1-line block ×3, first 2 shown]
	v_lshlrev_b16_e32 v64, 8, v64
	v_or_b32_sdwa v63, v63, v64 dst_sel:DWORD dst_unused:UNUSED_PAD src0_sel:BYTE_0 src1_sel:DWORD
	v_cvt_f32_f16_sdwa v65, v18 dst_sel:DWORD dst_unused:UNUSED_PAD src0_sel:WORD_1
	v_cvt_f32_f16_sdwa v64, v14 dst_sel:DWORD dst_unused:UNUSED_PAD src0_sel:WORD_1
	;; [unrolled: 1-line block ×4, first 2 shown]
	v_cvt_i32_f32_e32 v37, v37
	v_pk_mul_f32 v[64:65], v[42:43], v[64:65]
	v_rndne_f32_e32 v6, v64
	v_pk_mul_f32 v[66:67], v[40:41], v[66:67]
	v_rndne_f32_e32 v10, v66
	v_cmp_nge_f32_e64 s[6:7], s24, v6
	v_cndmask_b32_e64 v37, v55, v37, s[4:5]
	v_rndne_f32_e32 v14, v67
	v_cmp_nle_f32_e64 s[4:5], s23, v6
	v_cndmask_b32_e64 v6, v54, v6, s[6:7]
	v_cmp_nge_f32_e64 s[6:7], s24, v10
	v_cmp_nle_f32_e64 s[2:3], s23, v10
	v_cndmask_b32_e64 v10, v54, v10, s[6:7]
	v_cmp_nge_f32_e64 s[6:7], s24, v14
	v_cmp_nle_f32_e64 s[0:1], s23, v14
	v_cndmask_b32_e64 v14, v54, v14, s[6:7]
	v_cvt_i32_f32_e32 v14, v14
	v_cvt_i32_f32_e32 v10, v10
	v_rndne_f32_e32 v18, v65
	v_cmp_nge_f32_e64 s[6:7], s24, v18
	v_cndmask_b32_e64 v14, v55, v14, s[0:1]
	v_cndmask_b32_e64 v10, v55, v10, s[2:3]
	v_add_u32_e32 v14, v14, v38
	v_cmp_nle_f32_e32 vcc, s23, v18
	v_cndmask_b32_e64 v18, v54, v18, s[6:7]
	v_add_u32_e32 v64, v10, v38
	v_med3_i32 v14, v14, s25, v56
	v_cvt_i32_f32_e32 v18, v18
	v_cvt_i32_f32_e32 v6, v6
	v_med3_i32 v64, v64, s25, v56
	v_lshlrev_b16_e32 v14, 8, v14
	v_or_b32_sdwa v14, v64, v14 dst_sel:DWORD dst_unused:UNUSED_PAD src0_sel:BYTE_0 src1_sel:DWORD
	v_cvt_f32_f16_e32 v65, v19
	v_cvt_f32_f16_e32 v64, v15
	;; [unrolled: 1-line block ×4, first 2 shown]
	v_cndmask_b32_e64 v6, v55, v6, s[4:5]
	v_cndmask_b32_e32 v18, v55, v18, vcc
	v_add_u32_e32 v18, v18, v38
	v_add_u32_e32 v6, v6, v38
	v_pk_mul_f32 v[64:65], v[42:43], v[64:65]
	v_med3_i32 v10, v6, s25, v56
	v_med3_i32 v6, v18, s25, v56
	v_rndne_f32_e32 v18, v64
	v_pk_mul_f32 v[66:67], v[40:41], v[66:67]
	v_rndne_f32_e32 v64, v65
	v_cmp_nge_f32_e64 s[6:7], s24, v18
	v_rndne_f32_e32 v65, v66
	v_cmp_nle_f32_e64 s[4:5], s23, v18
	v_cndmask_b32_e64 v18, v54, v18, s[6:7]
	v_cmp_nge_f32_e64 s[6:7], s24, v64
	v_rndne_f32_e32 v66, v67
	v_cmp_nle_f32_e64 s[2:3], s23, v64
	v_cndmask_b32_e64 v64, v54, v64, s[6:7]
	v_cmp_nge_f32_e64 s[6:7], s24, v65
	v_cmp_nle_f32_e64 s[0:1], s23, v65
	v_cndmask_b32_e64 v65, v54, v65, s[6:7]
	v_cmp_nge_f32_e64 s[6:7], s24, v66
	v_cmp_nle_f32_e32 vcc, s23, v66
	v_cndmask_b32_e64 v66, v54, v66, s[6:7]
	v_cvt_i32_f32_e32 v66, v66
	v_cvt_i32_f32_e32 v65, v65
	;; [unrolled: 1-line block ×3, first 2 shown]
	v_lshlrev_b16_e32 v6, 8, v6
	v_cndmask_b32_e32 v66, v55, v66, vcc
	v_cndmask_b32_e64 v65, v55, v65, s[0:1]
	v_cndmask_b32_e64 v64, v55, v64, s[2:3]
	v_add_u32_e32 v66, v66, v38
	v_add_u32_e32 v65, v65, v38
	;; [unrolled: 1-line block ×3, first 2 shown]
	v_med3_i32 v70, v64, s25, v56
	v_med3_i32 v64, v65, s25, v56
	;; [unrolled: 1-line block ×3, first 2 shown]
	v_cvt_f32_f16_sdwa v67, v19 dst_sel:DWORD dst_unused:UNUSED_PAD src0_sel:WORD_1
	v_cvt_f32_f16_sdwa v66, v15 dst_sel:DWORD dst_unused:UNUSED_PAD src0_sel:WORD_1
	v_or_b32_sdwa v6, v68, v6 dst_sel:DWORD dst_unused:UNUSED_PAD src0_sel:BYTE_0 src1_sel:DWORD
	v_cvt_f32_f16_sdwa v68, v7 dst_sel:DWORD dst_unused:UNUSED_PAD src0_sel:WORD_1
	v_cvt_i32_f32_e32 v18, v18
	v_pk_mul_f32 v[66:67], v[42:43], v[66:67]
	v_rndne_f32_e32 v7, v66
	v_pk_mul_f32 v[68:69], v[40:41], v[68:69]
	v_rndne_f32_e32 v11, v68
	v_cmp_nge_f32_e64 s[6:7], s24, v7
	v_cndmask_b32_e64 v18, v55, v18, s[4:5]
	v_rndne_f32_e32 v15, v69
	v_cmp_nle_f32_e64 s[4:5], s23, v7
	v_cndmask_b32_e64 v7, v54, v7, s[6:7]
	v_cmp_nge_f32_e64 s[6:7], s24, v11
	v_rndne_f32_e32 v19, v67
	v_cmp_nle_f32_e64 s[2:3], s23, v11
	v_cndmask_b32_e64 v11, v54, v11, s[6:7]
	v_cmp_nge_f32_e64 s[6:7], s24, v15
	v_cmp_nle_f32_e64 s[0:1], s23, v15
	v_cndmask_b32_e64 v15, v54, v15, s[6:7]
	v_cmp_nge_f32_e64 s[6:7], s24, v19
	v_cmp_nle_f32_e32 vcc, s23, v19
	v_cndmask_b32_e64 v19, v54, v19, s[6:7]
	v_cvt_i32_f32_e32 v15, v15
	v_cvt_i32_f32_e32 v19, v19
	;; [unrolled: 1-line block ×4, first 2 shown]
	v_cvt_f32_f16_e32 v67, v20
	v_cvt_f32_f16_e32 v66, v16
	v_cndmask_b32_e64 v15, v55, v15, s[0:1]
	v_cvt_f32_f16_e32 v69, v12
	v_cvt_f32_f16_e32 v68, v8
	v_lshlrev_b16_e32 v65, 8, v65
	v_cndmask_b32_e64 v7, v55, v7, s[4:5]
	v_cndmask_b32_e64 v11, v55, v11, s[2:3]
	v_cndmask_b32_e32 v19, v55, v19, vcc
	v_add_u32_e32 v15, v15, v38
	v_or_b32_sdwa v64, v64, v65 dst_sel:DWORD dst_unused:UNUSED_PAD src0_sel:BYTE_0 src1_sel:DWORD
	v_add_u32_e32 v19, v19, v38
	v_add_u32_e32 v65, v11, v38
	;; [unrolled: 1-line block ×3, first 2 shown]
	v_med3_i32 v15, v15, s25, v56
	v_pk_mul_f32 v[66:67], v[42:43], v[66:67]
	v_med3_i32 v11, v7, s25, v56
	v_med3_i32 v65, v65, s25, v56
	v_med3_i32 v7, v19, s25, v56
	v_lshlrev_b16_e32 v15, 8, v15
	v_rndne_f32_e32 v19, v66
	v_or_b32_sdwa v15, v65, v15 dst_sel:DWORD dst_unused:UNUSED_PAD src0_sel:BYTE_0 src1_sel:DWORD
	v_pk_mul_f32 v[68:69], v[40:41], v[68:69]
	v_rndne_f32_e32 v65, v67
	v_cmp_nge_f32_e64 s[6:7], s24, v19
	v_rndne_f32_e32 v66, v68
	v_cmp_nle_f32_e64 s[4:5], s23, v19
	v_cndmask_b32_e64 v19, v54, v19, s[6:7]
	v_cmp_nge_f32_e64 s[6:7], s24, v65
	v_rndne_f32_e32 v67, v69
	v_cmp_nle_f32_e64 s[2:3], s23, v65
	v_cndmask_b32_e64 v65, v54, v65, s[6:7]
	v_cmp_nge_f32_e64 s[6:7], s24, v66
	v_cmp_nle_f32_e64 s[0:1], s23, v66
	v_cndmask_b32_e64 v66, v54, v66, s[6:7]
	v_cmp_nge_f32_e64 s[6:7], s24, v67
	v_cmp_nle_f32_e32 vcc, s23, v67
	v_cndmask_b32_e64 v67, v54, v67, s[6:7]
	v_cvt_i32_f32_e32 v67, v67
	v_cvt_i32_f32_e32 v66, v66
	;; [unrolled: 1-line block ×3, first 2 shown]
	v_lshlrev_b16_e32 v7, 8, v7
	v_cndmask_b32_e32 v67, v55, v67, vcc
	v_cndmask_b32_e64 v66, v55, v66, s[0:1]
	v_cndmask_b32_e64 v65, v55, v65, s[2:3]
	v_add_u32_e32 v67, v67, v38
	v_add_u32_e32 v66, v66, v38
	;; [unrolled: 1-line block ×3, first 2 shown]
	v_or_b32_sdwa v7, v70, v7 dst_sel:WORD_1 dst_unused:UNUSED_PAD src0_sel:BYTE_0 src1_sel:DWORD
	v_med3_i32 v70, v65, s25, v56
	v_med3_i32 v65, v66, s25, v56
	;; [unrolled: 1-line block ×3, first 2 shown]
	v_lshlrev_b16_e32 v66, 8, v66
	v_or_b32_sdwa v65, v65, v66 dst_sel:DWORD dst_unused:UNUSED_PAD src0_sel:BYTE_0 src1_sel:DWORD
	v_cvt_f32_f16_sdwa v67, v20 dst_sel:DWORD dst_unused:UNUSED_PAD src0_sel:WORD_1
	v_cvt_f32_f16_sdwa v66, v16 dst_sel:DWORD dst_unused:UNUSED_PAD src0_sel:WORD_1
	;; [unrolled: 1-line block ×4, first 2 shown]
	v_cvt_i32_f32_e32 v19, v19
	v_pk_mul_f32 v[66:67], v[42:43], v[66:67]
	v_rndne_f32_e32 v8, v66
	v_pk_mul_f32 v[68:69], v[40:41], v[68:69]
	v_rndne_f32_e32 v12, v68
	v_cmp_nge_f32_e64 s[6:7], s24, v8
	v_cndmask_b32_e64 v19, v55, v19, s[4:5]
	v_rndne_f32_e32 v16, v69
	v_cmp_nle_f32_e64 s[4:5], s23, v8
	v_cndmask_b32_e64 v8, v54, v8, s[6:7]
	v_cmp_nge_f32_e64 s[6:7], s24, v12
	v_cmp_nle_f32_e64 s[2:3], s23, v12
	v_cndmask_b32_e64 v12, v54, v12, s[6:7]
	v_cmp_nge_f32_e64 s[6:7], s24, v16
	v_cmp_nle_f32_e64 s[0:1], s23, v16
	v_cndmask_b32_e64 v16, v54, v16, s[6:7]
	v_cvt_i32_f32_e32 v16, v16
	v_cvt_i32_f32_e32 v12, v12
	v_rndne_f32_e32 v20, v67
	v_cmp_nge_f32_e64 s[6:7], s24, v20
	v_cndmask_b32_e64 v16, v55, v16, s[0:1]
	v_cndmask_b32_e64 v12, v55, v12, s[2:3]
	v_add_u32_e32 v16, v16, v38
	v_cmp_nle_f32_e32 vcc, s23, v20
	v_cndmask_b32_e64 v20, v54, v20, s[6:7]
	v_add_u32_e32 v66, v12, v38
	v_med3_i32 v16, v16, s25, v56
	v_cvt_i32_f32_e32 v20, v20
	v_cvt_i32_f32_e32 v8, v8
	v_med3_i32 v66, v66, s25, v56
	v_lshlrev_b16_e32 v16, 8, v16
	v_or_b32_sdwa v16, v66, v16 dst_sel:DWORD dst_unused:UNUSED_PAD src0_sel:BYTE_0 src1_sel:DWORD
	v_cvt_f32_f16_e32 v67, v21
	v_cvt_f32_f16_e32 v66, v17
	;; [unrolled: 1-line block ×4, first 2 shown]
	v_cndmask_b32_e64 v8, v55, v8, s[4:5]
	v_cndmask_b32_e32 v20, v55, v20, vcc
	v_add_u32_e32 v20, v20, v38
	v_add_u32_e32 v8, v8, v38
	v_pk_mul_f32 v[66:67], v[42:43], v[66:67]
	v_med3_i32 v12, v8, s25, v56
	v_med3_i32 v8, v20, s25, v56
	v_rndne_f32_e32 v20, v66
	v_pk_mul_f32 v[68:69], v[40:41], v[68:69]
	v_rndne_f32_e32 v66, v67
	v_cmp_nge_f32_e64 s[6:7], s24, v20
	v_rndne_f32_e32 v67, v68
	v_cmp_nle_f32_e64 s[4:5], s23, v20
	v_cndmask_b32_e64 v20, v54, v20, s[6:7]
	v_cmp_nge_f32_e64 s[6:7], s24, v66
	v_rndne_f32_e32 v68, v69
	v_cmp_nle_f32_e64 s[2:3], s23, v66
	v_cndmask_b32_e64 v66, v54, v66, s[6:7]
	v_cmp_nge_f32_e64 s[6:7], s24, v67
	v_cmp_nle_f32_e64 s[0:1], s23, v67
	v_cndmask_b32_e64 v67, v54, v67, s[6:7]
	v_cmp_nge_f32_e64 s[6:7], s24, v68
	v_cmp_nle_f32_e32 vcc, s23, v68
	v_cndmask_b32_e64 v68, v54, v68, s[6:7]
	v_cvt_i32_f32_e32 v68, v68
	v_cvt_i32_f32_e32 v67, v67
	;; [unrolled: 1-line block ×3, first 2 shown]
	v_lshlrev_b16_e32 v8, 8, v8
	v_cndmask_b32_e32 v68, v55, v68, vcc
	v_cndmask_b32_e64 v67, v55, v67, s[0:1]
	v_cndmask_b32_e64 v66, v55, v66, s[2:3]
	v_add_u32_e32 v68, v68, v38
	v_add_u32_e32 v67, v67, v38
	;; [unrolled: 1-line block ×3, first 2 shown]
	v_med3_i32 v72, v66, s25, v56
	v_med3_i32 v66, v67, s25, v56
	;; [unrolled: 1-line block ×3, first 2 shown]
	v_cvt_f32_f16_sdwa v69, v21 dst_sel:DWORD dst_unused:UNUSED_PAD src0_sel:WORD_1
	v_cvt_f32_f16_sdwa v68, v17 dst_sel:DWORD dst_unused:UNUSED_PAD src0_sel:WORD_1
	v_or_b32_sdwa v8, v70, v8 dst_sel:DWORD dst_unused:UNUSED_PAD src0_sel:BYTE_0 src1_sel:DWORD
	v_cvt_f32_f16_sdwa v71, v13 dst_sel:DWORD dst_unused:UNUSED_PAD src0_sel:WORD_1
	v_cvt_f32_f16_sdwa v70, v9 dst_sel:DWORD dst_unused:UNUSED_PAD src0_sel:WORD_1
	v_cvt_i32_f32_e32 v20, v20
	v_pk_mul_f32 v[68:69], v[42:43], v[68:69]
	v_rndne_f32_e32 v9, v68
	v_pk_mul_f32 v[70:71], v[40:41], v[70:71]
	v_rndne_f32_e32 v13, v70
	v_cmp_nge_f32_e64 s[6:7], s24, v9
	v_cndmask_b32_e64 v20, v55, v20, s[4:5]
	v_rndne_f32_e32 v17, v71
	v_cmp_nle_f32_e64 s[4:5], s23, v9
	v_cndmask_b32_e64 v9, v54, v9, s[6:7]
	v_cmp_nge_f32_e64 s[6:7], s24, v13
	v_rndne_f32_e32 v21, v69
	v_cmp_nle_f32_e64 s[2:3], s23, v13
	v_cndmask_b32_e64 v13, v54, v13, s[6:7]
	v_cmp_nge_f32_e64 s[6:7], s24, v17
	v_cmp_nle_f32_e64 s[0:1], s23, v17
	v_cndmask_b32_e64 v17, v54, v17, s[6:7]
	v_cmp_nge_f32_e64 s[6:7], s24, v21
	v_cmp_nle_f32_e32 vcc, s23, v21
	v_cndmask_b32_e64 v21, v54, v21, s[6:7]
	v_cvt_i32_f32_e32 v21, v21
	v_cvt_i32_f32_e32 v17, v17
	;; [unrolled: 1-line block ×3, first 2 shown]
	v_lshlrev_b64 v[68:69], 4, v[44:45]
	v_cndmask_b32_e32 v21, v55, v21, vcc
	v_cndmask_b32_e64 v17, v55, v17, s[0:1]
	v_add_co_u32_e32 v68, vcc, s16, v68
	v_cndmask_b32_e64 v13, v55, v13, s[2:3]
	v_add_u32_e32 v17, v17, v38
	v_addc_co_u32_e32 v69, vcc, v57, v69, vcc
	v_add_u32_e32 v13, v13, v38
	v_med3_i32 v17, v17, s25, v56
	v_add_co_u32_e32 v46, vcc, s16, v46
	v_add_u32_e32 v1, v1, v38
	v_and_b32_e32 v59, 0xffff, v59
	v_med3_i32 v13, v13, s25, v56
	v_lshlrev_b16_e32 v17, 8, v17
	v_addc_co_u32_e32 v47, vcc, v57, v47, vcc
	v_med3_i32 v1, v1, s25, v56
	v_and_b32_e32 v30, 0xffff, v30
	v_or_b32_sdwa v13, v13, v17 dst_sel:DWORD dst_unused:UNUSED_PAD src0_sel:BYTE_0 src1_sel:DWORD
	v_add_co_u32_e32 v48, vcc, s16, v48
	v_lshrrev_b32_e32 v17, 8, v59
	v_and_b32_e32 v60, 0xffff, v60
	v_addc_co_u32_e32 v49, vcc, v57, v49, vcc
	global_store_byte v[68:69], v59, off
	global_store_byte v[46:47], v17, off
	;; [unrolled: 1-line block ×3, first 2 shown]
	global_store_byte v[68:69], v30, off offset:1
	v_lshrrev_b32_e32 v1, 8, v30
	v_add_u32_e32 v34, v34, v38
	v_and_b32_e32 v31, 0xffff, v31
	global_store_byte v[46:47], v1, off offset:1
	global_store_byte v[48:49], v26, off offset:1
	global_store_byte v[68:69], v60, off offset:2
	v_lshrrev_b32_e32 v1, 8, v60
	v_med3_i32 v34, v34, s25, v56
	v_and_b32_e32 v61, 0xffff, v61
	global_store_byte v[46:47], v1, off offset:2
	global_store_byte v[48:49], v34, off offset:2
	global_store_byte v[68:69], v31, off offset:3
	v_lshrrev_b32_e32 v1, 8, v31
	v_add_u32_e32 v35, v35, v38
	v_and_b32_e32 v32, 0xffff, v32
	global_store_byte v[46:47], v1, off offset:3
	global_store_byte v[48:49], v27, off offset:3
	global_store_byte v[68:69], v61, off offset:4
	v_lshrrev_b32_e32 v1, 8, v61
	v_med3_i32 v35, v35, s25, v56
	v_and_b32_e32 v62, 0xffff, v62
	global_store_byte v[46:47], v1, off offset:4
	global_store_byte v[48:49], v35, off offset:4
	global_store_byte v[68:69], v32, off offset:5
	v_lshrrev_b32_e32 v1, 8, v32
	v_add_u32_e32 v36, v36, v38
	v_and_b32_e32 v33, 0xffff, v33
	global_store_byte v[46:47], v1, off offset:5
	global_store_byte v[48:49], v28, off offset:5
	global_store_byte v[68:69], v62, off offset:6
	v_lshrrev_b32_e32 v1, 8, v62
	v_med3_i32 v36, v36, s25, v56
	v_and_b32_e32 v63, 0xffff, v63
	global_store_byte v[46:47], v1, off offset:6
	global_store_byte v[48:49], v36, off offset:6
	global_store_byte v[68:69], v33, off offset:7
	v_lshrrev_b32_e32 v1, 8, v33
	v_add_u32_e32 v37, v37, v38
	v_and_b32_e32 v14, 0xffff, v14
	global_store_byte v[46:47], v1, off offset:7
	global_store_byte v[48:49], v29, off offset:7
	;; [unrolled: 1-line block ×3, first 2 shown]
	v_lshrrev_b32_e32 v1, 8, v63
	v_med3_i32 v37, v37, s25, v56
	v_and_b32_e32 v64, 0xffff, v64
	v_cvt_i32_f32_e32 v9, v9
	global_store_byte v[46:47], v1, off offset:8
	global_store_byte v[48:49], v37, off offset:8
	;; [unrolled: 1-line block ×3, first 2 shown]
	v_lshrrev_b32_e32 v1, 8, v14
	v_add_u32_e32 v18, v18, v38
	v_and_b32_e32 v15, 0xffff, v15
	global_store_byte v[46:47], v1, off offset:9
	global_store_byte v[48:49], v10, off offset:9
	;; [unrolled: 1-line block ×3, first 2 shown]
	v_lshrrev_b32_e32 v1, 8, v64
	v_med3_i32 v18, v18, s25, v56
	v_and_b32_e32 v65, 0xffff, v65
	v_lshlrev_b16_e32 v67, 8, v67
	global_store_byte v[46:47], v1, off offset:10
	global_store_byte v[48:49], v18, off offset:10
	;; [unrolled: 1-line block ×3, first 2 shown]
	v_lshrrev_b32_e32 v1, 8, v15
	v_add_u32_e32 v19, v19, v38
	v_and_b32_e32 v16, 0xffff, v16
	v_or_b32_sdwa v66, v66, v67 dst_sel:DWORD dst_unused:UNUSED_PAD src0_sel:BYTE_0 src1_sel:DWORD
	v_add_u32_e32 v21, v21, v38
	global_store_byte v[46:47], v1, off offset:11
	global_store_byte v[48:49], v11, off offset:11
	;; [unrolled: 1-line block ×3, first 2 shown]
	v_lshrrev_b32_e32 v1, 8, v65
	v_med3_i32 v19, v19, s25, v56
	v_and_b32_e32 v66, 0xffff, v66
	v_cndmask_b32_e64 v9, v55, v9, s[4:5]
	v_med3_i32 v21, v21, s25, v56
	v_add_co_u32_e32 v50, vcc, s16, v50
	global_store_byte v[46:47], v1, off offset:12
	global_store_byte v[48:49], v19, off offset:12
	;; [unrolled: 1-line block ×3, first 2 shown]
	v_lshrrev_b32_e32 v1, 8, v16
	v_add_u32_e32 v20, v20, v38
	v_add_u32_e32 v9, v9, v38
	v_lshlrev_b16_e32 v21, 8, v21
	v_and_b32_e32 v13, 0xffff, v13
	v_addc_co_u32_e32 v51, vcc, v57, v51, vcc
	global_store_byte v[46:47], v1, off offset:13
	global_store_byte v[48:49], v12, off offset:13
	;; [unrolled: 1-line block ×3, first 2 shown]
	v_lshrrev_b32_e32 v1, 8, v66
	v_med3_i32 v20, v20, s25, v56
	v_med3_i32 v9, v9, s25, v56
	v_or_b32_sdwa v21, v72, v21 dst_sel:WORD_1 dst_unused:UNUSED_PAD src0_sel:BYTE_0 src1_sel:DWORD
	global_store_byte v[46:47], v1, off offset:14
	global_store_byte v[48:49], v20, off offset:14
	;; [unrolled: 1-line block ×3, first 2 shown]
	v_lshrrev_b32_e32 v1, 8, v13
	v_cmp_eq_u32_e32 vcc, 0, v58
	global_store_byte v[46:47], v1, off offset:15
	global_store_byte v[48:49], v9, off offset:15
	v_or_b32_sdwa v9, v8, v21 dst_sel:DWORD dst_unused:UNUSED_PAD src0_sel:WORD_0 src1_sel:DWORD
	v_or_b32_sdwa v8, v6, v7 dst_sel:DWORD dst_unused:UNUSED_PAD src0_sel:WORD_0 src1_sel:DWORD
	v_or_b32_sdwa v7, v24, v25 dst_sel:DWORD dst_unused:UNUSED_PAD src0_sel:WORD_0 src1_sel:DWORD
	v_or_b32_sdwa v6, v22, v23 dst_sel:DWORD dst_unused:UNUSED_PAD src0_sel:WORD_0 src1_sel:DWORD
	s_or_b64 s[20:21], vcc, s[20:21]
	global_store_dwordx4 v[50:51], v[6:9], off
	s_andn2_b64 exec, exec, s[20:21]
	s_cbranch_execnz .LBB9_146
; %bb.147:
	s_or_b64 exec, exec, s[20:21]
	v_cmp_ne_u32_e32 vcc, v39, v52
	v_add_u32_e32 v0, v0, v52
	s_orn2_b64 s[0:1], vcc, exec
.LBB9_148:
	s_or_b64 exec, exec, s[18:19]
	s_and_b64 exec, exec, s[0:1]
	s_cbranch_execz .LBB9_215
; %bb.149:
	v_mov_b32_e32 v1, 0
	s_add_u32 s0, s14, s12
	v_lshlrev_b64 v[2:3], 4, v[0:1]
	s_addc_u32 s1, s15, s13
	s_lshl_b32 s7, s28, 4
	v_mov_b32_e32 v4, s1
	v_add_co_u32_e32 v10, vcc, s0, v2
	s_add_u32 s0, s8, s10
	v_addc_co_u32_e32 v11, vcc, v4, v3, vcc
	v_lshlrev_b64 v[2:3], 5, v[0:1]
	s_addc_u32 s1, s9, s11
	s_mov_b32 s6, 0
	v_mov_b32_e32 v1, s1
	v_add_co_u32_e32 v12, vcc, s0, v2
	v_addc_co_u32_e32 v13, vcc, v1, v3, vcc
	s_lshl_b32 s8, s28, 5
	s_mov_b32 s9, s6
	s_mov_b64 s[0:1], 0
	s_mov_b32 s10, 0x4f000000
	s_mov_b32 s11, 0xcf000000
	s_movk_i32 s12, 0xff80
	v_mov_b32_e32 v1, 0x7f
	s_branch .LBB9_152
.LBB9_150:                              ;   in Loop: Header=BB9_152 Depth=1
	s_or_b64 exec, exec, s[4:5]
.LBB9_151:                              ;   in Loop: Header=BB9_152 Depth=1
	s_or_b64 exec, exec, s[2:3]
	v_add_u32_e32 v3, v3, v38
	v_add_u32_e32 v4, v4, v38
	;; [unrolled: 1-line block ×3, first 2 shown]
	v_med3_i32 v3, v3, s12, v1
	v_add_u32_e32 v21, v21, v38
	v_med3_i32 v4, v4, s12, v1
	v_med3_i32 v5, v5, s12, v1
	;; [unrolled: 1-line block ×3, first 2 shown]
	v_add_u32_e32 v2, v2, v38
	v_add_u32_e32 v9, v9, v38
	v_lshlrev_b16_e32 v3, 8, v3
	v_lshlrev_b16_e32 v4, 8, v4
	v_med3_i32 v2, v2, s12, v1
	v_add_u32_e32 v20, v20, v38
	v_med3_i32 v9, v9, s12, v1
	v_add_u32_e32 v19, v19, v38
	v_or_b32_sdwa v3, v21, v3 dst_sel:DWORD dst_unused:UNUSED_PAD src0_sel:BYTE_0 src1_sel:DWORD
	v_or_b32_sdwa v4, v5, v4 dst_sel:WORD_1 dst_unused:UNUSED_PAD src0_sel:BYTE_0 src1_sel:DWORD
	v_med3_i32 v20, v20, s12, v1
	v_med3_i32 v19, v19, s12, v1
	v_add_u32_e32 v8, v8, v38
	v_add_u32_e32 v7, v7, v38
	v_or_b32_sdwa v5, v3, v4 dst_sel:DWORD dst_unused:UNUSED_PAD src0_sel:WORD_0 src1_sel:DWORD
	v_lshlrev_b16_e32 v3, 8, v9
	v_lshlrev_b16_e32 v2, 8, v2
	v_med3_i32 v8, v8, s12, v1
	v_add_u32_e32 v18, v18, v38
	v_med3_i32 v7, v7, s12, v1
	v_add_u32_e32 v17, v17, v38
	v_or_b32_sdwa v3, v19, v3 dst_sel:DWORD dst_unused:UNUSED_PAD src0_sel:BYTE_0 src1_sel:DWORD
	v_or_b32_sdwa v2, v20, v2 dst_sel:WORD_1 dst_unused:UNUSED_PAD src0_sel:BYTE_0 src1_sel:DWORD
	v_med3_i32 v18, v18, s12, v1
	v_med3_i32 v17, v17, s12, v1
	v_add_u32_e32 v6, v6, v38
	v_add_u32_e32 v14, v14, v38
	v_or_b32_sdwa v4, v3, v2 dst_sel:DWORD dst_unused:UNUSED_PAD src0_sel:WORD_0 src1_sel:DWORD
	v_lshlrev_b16_e32 v2, 8, v7
	v_lshlrev_b16_e32 v3, 8, v8
	v_med3_i32 v6, v6, s12, v1
	v_add_u32_e32 v16, v16, v38
	v_med3_i32 v14, v14, s12, v1
	v_add_u32_e32 v15, v15, v38
	v_or_b32_sdwa v2, v17, v2 dst_sel:DWORD dst_unused:UNUSED_PAD src0_sel:BYTE_0 src1_sel:DWORD
	v_or_b32_sdwa v3, v18, v3 dst_sel:WORD_1 dst_unused:UNUSED_PAD src0_sel:BYTE_0 src1_sel:DWORD
	v_med3_i32 v16, v16, s12, v1
	v_med3_i32 v15, v15, s12, v1
	v_or_b32_sdwa v3, v2, v3 dst_sel:DWORD dst_unused:UNUSED_PAD src0_sel:WORD_0 src1_sel:DWORD
	v_lshlrev_b16_e32 v2, 8, v14
	v_lshlrev_b16_e32 v6, 8, v6
	v_or_b32_sdwa v2, v15, v2 dst_sel:DWORD dst_unused:UNUSED_PAD src0_sel:BYTE_0 src1_sel:DWORD
	v_or_b32_sdwa v6, v16, v6 dst_sel:WORD_1 dst_unused:UNUSED_PAD src0_sel:BYTE_0 src1_sel:DWORD
	v_or_b32_sdwa v2, v2, v6 dst_sel:DWORD dst_unused:UNUSED_PAD src0_sel:WORD_0 src1_sel:DWORD
	global_store_dwordx4 v[10:11], v[2:5], off
	v_add_co_u32_e32 v10, vcc, s7, v10
	v_mov_b32_e32 v2, s6
	v_add_u32_e32 v0, s28, v0
	v_addc_co_u32_e32 v11, vcc, v11, v2, vcc
	v_cmp_le_i32_e32 vcc, s22, v0
	v_mov_b32_e32 v2, s9
	s_or_b64 s[0:1], vcc, s[0:1]
	v_add_co_u32_e32 v12, vcc, s8, v12
	v_addc_co_u32_e32 v13, vcc, v13, v2, vcc
	s_andn2_b64 exec, exec, s[0:1]
	s_cbranch_execz .LBB9_215
.LBB9_152:                              ; =>This Inner Loop Header: Depth=1
	global_load_dwordx4 v[6:9], v[12:13], off
	global_load_dwordx4 v[2:5], v[12:13], off offset:16
	v_bfrev_b32_e32 v14, -2
	s_waitcnt vmcnt(1)
	v_cvt_f32_f16_e32 v15, v6
	v_mul_f32_e32 v15, v40, v15
	v_rndne_f32_e32 v16, v15
	v_cmp_nle_f32_e32 vcc, s10, v16
	v_bfrev_b32_e32 v15, -2
	s_and_saveexec_b64 s[2:3], vcc
	s_cbranch_execz .LBB9_156
; %bb.153:                              ;   in Loop: Header=BB9_152 Depth=1
	v_cmp_nge_f32_e32 vcc, s11, v16
	v_bfrev_b32_e32 v15, 1
	s_and_saveexec_b64 s[4:5], vcc
; %bb.154:                              ;   in Loop: Header=BB9_152 Depth=1
	v_cvt_i32_f32_e32 v15, v16
; %bb.155:                              ;   in Loop: Header=BB9_152 Depth=1
	s_or_b64 exec, exec, s[4:5]
.LBB9_156:                              ;   in Loop: Header=BB9_152 Depth=1
	s_or_b64 exec, exec, s[2:3]
	v_cvt_f32_f16_sdwa v6, v6 dst_sel:DWORD dst_unused:UNUSED_PAD src0_sel:WORD_1
	v_mul_f32_e32 v6, v40, v6
	v_rndne_f32_e32 v6, v6
	v_cmp_nle_f32_e32 vcc, s10, v6
	s_and_saveexec_b64 s[2:3], vcc
	s_cbranch_execz .LBB9_160
; %bb.157:                              ;   in Loop: Header=BB9_152 Depth=1
	v_cmp_nge_f32_e32 vcc, s11, v6
	v_bfrev_b32_e32 v14, 1
	s_and_saveexec_b64 s[4:5], vcc
; %bb.158:                              ;   in Loop: Header=BB9_152 Depth=1
	v_cvt_i32_f32_e32 v14, v6
; %bb.159:                              ;   in Loop: Header=BB9_152 Depth=1
	s_or_b64 exec, exec, s[4:5]
.LBB9_160:                              ;   in Loop: Header=BB9_152 Depth=1
	s_or_b64 exec, exec, s[2:3]
	v_cvt_f32_f16_e32 v16, v7
	v_bfrev_b32_e32 v6, -2
	v_mul_f32_e32 v16, v40, v16
	v_rndne_f32_e32 v17, v16
	v_cmp_nle_f32_e32 vcc, s10, v17
	v_bfrev_b32_e32 v16, -2
	s_and_saveexec_b64 s[2:3], vcc
	s_cbranch_execz .LBB9_164
; %bb.161:                              ;   in Loop: Header=BB9_152 Depth=1
	v_cmp_nge_f32_e32 vcc, s11, v17
	v_bfrev_b32_e32 v16, 1
	s_and_saveexec_b64 s[4:5], vcc
; %bb.162:                              ;   in Loop: Header=BB9_152 Depth=1
	v_cvt_i32_f32_e32 v16, v17
; %bb.163:                              ;   in Loop: Header=BB9_152 Depth=1
	s_or_b64 exec, exec, s[4:5]
.LBB9_164:                              ;   in Loop: Header=BB9_152 Depth=1
	s_or_b64 exec, exec, s[2:3]
	v_cvt_f32_f16_sdwa v7, v7 dst_sel:DWORD dst_unused:UNUSED_PAD src0_sel:WORD_1
	v_mul_f32_e32 v7, v40, v7
	v_rndne_f32_e32 v7, v7
	v_cmp_nle_f32_e32 vcc, s10, v7
	s_and_saveexec_b64 s[2:3], vcc
	s_cbranch_execz .LBB9_168
; %bb.165:                              ;   in Loop: Header=BB9_152 Depth=1
	v_cmp_nge_f32_e32 vcc, s11, v7
	v_bfrev_b32_e32 v6, 1
	s_and_saveexec_b64 s[4:5], vcc
; %bb.166:                              ;   in Loop: Header=BB9_152 Depth=1
	v_cvt_i32_f32_e32 v6, v7
; %bb.167:                              ;   in Loop: Header=BB9_152 Depth=1
	s_or_b64 exec, exec, s[4:5]
.LBB9_168:                              ;   in Loop: Header=BB9_152 Depth=1
	s_or_b64 exec, exec, s[2:3]
	v_cvt_f32_f16_e32 v17, v8
	v_bfrev_b32_e32 v7, -2
	;; [unrolled: 34-line block ×3, first 2 shown]
	v_mul_f32_e32 v18, v40, v18
	v_rndne_f32_e32 v19, v18
	v_cmp_nle_f32_e32 vcc, s10, v19
	v_bfrev_b32_e32 v18, -2
	s_and_saveexec_b64 s[2:3], vcc
	s_cbranch_execz .LBB9_180
; %bb.177:                              ;   in Loop: Header=BB9_152 Depth=1
	v_cmp_nge_f32_e32 vcc, s11, v19
	v_bfrev_b32_e32 v18, 1
	s_and_saveexec_b64 s[4:5], vcc
; %bb.178:                              ;   in Loop: Header=BB9_152 Depth=1
	v_cvt_i32_f32_e32 v18, v19
; %bb.179:                              ;   in Loop: Header=BB9_152 Depth=1
	s_or_b64 exec, exec, s[4:5]
.LBB9_180:                              ;   in Loop: Header=BB9_152 Depth=1
	s_or_b64 exec, exec, s[2:3]
	v_cvt_f32_f16_sdwa v9, v9 dst_sel:DWORD dst_unused:UNUSED_PAD src0_sel:WORD_1
	v_mul_f32_e32 v9, v40, v9
	v_rndne_f32_e32 v9, v9
	v_cmp_nle_f32_e32 vcc, s10, v9
	s_and_saveexec_b64 s[2:3], vcc
	s_cbranch_execz .LBB9_184
; %bb.181:                              ;   in Loop: Header=BB9_152 Depth=1
	v_cmp_nge_f32_e32 vcc, s11, v9
	v_bfrev_b32_e32 v8, 1
	s_and_saveexec_b64 s[4:5], vcc
; %bb.182:                              ;   in Loop: Header=BB9_152 Depth=1
	v_cvt_i32_f32_e32 v8, v9
; %bb.183:                              ;   in Loop: Header=BB9_152 Depth=1
	s_or_b64 exec, exec, s[4:5]
.LBB9_184:                              ;   in Loop: Header=BB9_152 Depth=1
	s_or_b64 exec, exec, s[2:3]
	s_waitcnt vmcnt(0)
	v_cvt_f32_f16_e32 v19, v2
	v_bfrev_b32_e32 v9, -2
	v_mul_f32_e32 v19, v40, v19
	v_rndne_f32_e32 v20, v19
	v_cmp_nle_f32_e32 vcc, s10, v20
	v_bfrev_b32_e32 v19, -2
	s_and_saveexec_b64 s[2:3], vcc
	s_cbranch_execz .LBB9_188
; %bb.185:                              ;   in Loop: Header=BB9_152 Depth=1
	v_cmp_nge_f32_e32 vcc, s11, v20
	v_bfrev_b32_e32 v19, 1
	s_and_saveexec_b64 s[4:5], vcc
; %bb.186:                              ;   in Loop: Header=BB9_152 Depth=1
	v_cvt_i32_f32_e32 v19, v20
; %bb.187:                              ;   in Loop: Header=BB9_152 Depth=1
	s_or_b64 exec, exec, s[4:5]
.LBB9_188:                              ;   in Loop: Header=BB9_152 Depth=1
	s_or_b64 exec, exec, s[2:3]
	v_cvt_f32_f16_sdwa v2, v2 dst_sel:DWORD dst_unused:UNUSED_PAD src0_sel:WORD_1
	v_mul_f32_e32 v2, v40, v2
	v_rndne_f32_e32 v2, v2
	v_cmp_nle_f32_e32 vcc, s10, v2
	s_and_saveexec_b64 s[2:3], vcc
	s_cbranch_execz .LBB9_192
; %bb.189:                              ;   in Loop: Header=BB9_152 Depth=1
	v_cmp_nge_f32_e32 vcc, s11, v2
	v_bfrev_b32_e32 v9, 1
	s_and_saveexec_b64 s[4:5], vcc
; %bb.190:                              ;   in Loop: Header=BB9_152 Depth=1
	v_cvt_i32_f32_e32 v9, v2
; %bb.191:                              ;   in Loop: Header=BB9_152 Depth=1
	s_or_b64 exec, exec, s[4:5]
.LBB9_192:                              ;   in Loop: Header=BB9_152 Depth=1
	s_or_b64 exec, exec, s[2:3]
	v_cvt_f32_f16_e32 v20, v3
	v_bfrev_b32_e32 v2, -2
	v_mul_f32_e32 v20, v40, v20
	v_rndne_f32_e32 v21, v20
	v_cmp_nle_f32_e32 vcc, s10, v21
	v_bfrev_b32_e32 v20, -2
	s_and_saveexec_b64 s[2:3], vcc
	s_cbranch_execz .LBB9_196
; %bb.193:                              ;   in Loop: Header=BB9_152 Depth=1
	v_cmp_nge_f32_e32 vcc, s11, v21
	v_bfrev_b32_e32 v20, 1
	s_and_saveexec_b64 s[4:5], vcc
; %bb.194:                              ;   in Loop: Header=BB9_152 Depth=1
	v_cvt_i32_f32_e32 v20, v21
; %bb.195:                              ;   in Loop: Header=BB9_152 Depth=1
	s_or_b64 exec, exec, s[4:5]
.LBB9_196:                              ;   in Loop: Header=BB9_152 Depth=1
	s_or_b64 exec, exec, s[2:3]
	v_cvt_f32_f16_sdwa v3, v3 dst_sel:DWORD dst_unused:UNUSED_PAD src0_sel:WORD_1
	v_mul_f32_e32 v3, v40, v3
	v_rndne_f32_e32 v3, v3
	v_cmp_nle_f32_e32 vcc, s10, v3
	s_and_saveexec_b64 s[2:3], vcc
	s_cbranch_execz .LBB9_200
; %bb.197:                              ;   in Loop: Header=BB9_152 Depth=1
	v_cmp_nge_f32_e32 vcc, s11, v3
	v_bfrev_b32_e32 v2, 1
	s_and_saveexec_b64 s[4:5], vcc
; %bb.198:                              ;   in Loop: Header=BB9_152 Depth=1
	v_cvt_i32_f32_e32 v2, v3
; %bb.199:                              ;   in Loop: Header=BB9_152 Depth=1
	s_or_b64 exec, exec, s[4:5]
.LBB9_200:                              ;   in Loop: Header=BB9_152 Depth=1
	s_or_b64 exec, exec, s[2:3]
	;; [unrolled: 34-line block ×3, first 2 shown]
	v_cvt_f32_f16_e32 v22, v5
	v_bfrev_b32_e32 v4, -2
	v_mul_f32_e32 v22, v40, v22
	v_rndne_f32_e32 v23, v22
	v_cmp_nle_f32_e32 vcc, s10, v23
	v_bfrev_b32_e32 v22, -2
	s_and_saveexec_b64 s[2:3], vcc
	s_cbranch_execz .LBB9_212
; %bb.209:                              ;   in Loop: Header=BB9_152 Depth=1
	v_cmp_nge_f32_e32 vcc, s11, v23
	v_bfrev_b32_e32 v22, 1
	s_and_saveexec_b64 s[4:5], vcc
; %bb.210:                              ;   in Loop: Header=BB9_152 Depth=1
	v_cvt_i32_f32_e32 v22, v23
; %bb.211:                              ;   in Loop: Header=BB9_152 Depth=1
	s_or_b64 exec, exec, s[4:5]
.LBB9_212:                              ;   in Loop: Header=BB9_152 Depth=1
	s_or_b64 exec, exec, s[2:3]
	v_cvt_f32_f16_sdwa v5, v5 dst_sel:DWORD dst_unused:UNUSED_PAD src0_sel:WORD_1
	v_mul_f32_e32 v5, v40, v5
	v_rndne_f32_e32 v5, v5
	v_cmp_nle_f32_e32 vcc, s10, v5
	s_and_saveexec_b64 s[2:3], vcc
	s_cbranch_execz .LBB9_151
; %bb.213:                              ;   in Loop: Header=BB9_152 Depth=1
	v_cmp_nge_f32_e32 vcc, s11, v5
	v_bfrev_b32_e32 v4, 1
	s_and_saveexec_b64 s[4:5], vcc
	s_cbranch_execz .LBB9_150
; %bb.214:                              ;   in Loop: Header=BB9_152 Depth=1
	v_cvt_i32_f32_e32 v4, v5
	s_branch .LBB9_150
.LBB9_215:
	s_endpgm
	.section	.rodata,"a",@progbits
	.p2align	6, 0x0
	.amdhsa_kernel _ZN4vllm36dynamic_scaled_int8_azp_quant_kernelIN3c104HalfEfiEEvPKT_PaPT0_PT1_i
		.amdhsa_group_segment_fixed_size 40
		.amdhsa_private_segment_fixed_size 0
		.amdhsa_kernarg_size 296
		.amdhsa_user_sgpr_count 6
		.amdhsa_user_sgpr_private_segment_buffer 1
		.amdhsa_user_sgpr_dispatch_ptr 0
		.amdhsa_user_sgpr_queue_ptr 0
		.amdhsa_user_sgpr_kernarg_segment_ptr 1
		.amdhsa_user_sgpr_dispatch_id 0
		.amdhsa_user_sgpr_flat_scratch_init 0
		.amdhsa_user_sgpr_kernarg_preload_length 0
		.amdhsa_user_sgpr_kernarg_preload_offset 0
		.amdhsa_user_sgpr_private_segment_size 0
		.amdhsa_uses_dynamic_stack 0
		.amdhsa_system_sgpr_private_segment_wavefront_offset 0
		.amdhsa_system_sgpr_workgroup_id_x 1
		.amdhsa_system_sgpr_workgroup_id_y 0
		.amdhsa_system_sgpr_workgroup_id_z 0
		.amdhsa_system_sgpr_workgroup_info 0
		.amdhsa_system_vgpr_workitem_id 0
		.amdhsa_next_free_vgpr 73
		.amdhsa_next_free_sgpr 42
		.amdhsa_accum_offset 76
		.amdhsa_reserve_vcc 1
		.amdhsa_reserve_flat_scratch 0
		.amdhsa_float_round_mode_32 0
		.amdhsa_float_round_mode_16_64 0
		.amdhsa_float_denorm_mode_32 3
		.amdhsa_float_denorm_mode_16_64 3
		.amdhsa_dx10_clamp 1
		.amdhsa_ieee_mode 1
		.amdhsa_fp16_overflow 0
		.amdhsa_tg_split 0
		.amdhsa_exception_fp_ieee_invalid_op 0
		.amdhsa_exception_fp_denorm_src 0
		.amdhsa_exception_fp_ieee_div_zero 0
		.amdhsa_exception_fp_ieee_overflow 0
		.amdhsa_exception_fp_ieee_underflow 0
		.amdhsa_exception_fp_ieee_inexact 0
		.amdhsa_exception_int_div_zero 0
	.end_amdhsa_kernel
	.section	.text._ZN4vllm36dynamic_scaled_int8_azp_quant_kernelIN3c104HalfEfiEEvPKT_PaPT0_PT1_i,"axG",@progbits,_ZN4vllm36dynamic_scaled_int8_azp_quant_kernelIN3c104HalfEfiEEvPKT_PaPT0_PT1_i,comdat
.Lfunc_end9:
	.size	_ZN4vllm36dynamic_scaled_int8_azp_quant_kernelIN3c104HalfEfiEEvPKT_PaPT0_PT1_i, .Lfunc_end9-_ZN4vllm36dynamic_scaled_int8_azp_quant_kernelIN3c104HalfEfiEEvPKT_PaPT0_PT1_i
                                        ; -- End function
	.section	.AMDGPU.csdata,"",@progbits
; Kernel info:
; codeLenInByte = 17672
; NumSgprs: 46
; NumVgprs: 73
; NumAgprs: 0
; TotalNumVgprs: 73
; ScratchSize: 0
; MemoryBound: 0
; FloatMode: 240
; IeeeMode: 1
; LDSByteSize: 40 bytes/workgroup (compile time only)
; SGPRBlocks: 5
; VGPRBlocks: 9
; NumSGPRsForWavesPerEU: 46
; NumVGPRsForWavesPerEU: 73
; AccumOffset: 76
; Occupancy: 6
; WaveLimiterHint : 0
; COMPUTE_PGM_RSRC2:SCRATCH_EN: 0
; COMPUTE_PGM_RSRC2:USER_SGPR: 6
; COMPUTE_PGM_RSRC2:TRAP_HANDLER: 0
; COMPUTE_PGM_RSRC2:TGID_X_EN: 1
; COMPUTE_PGM_RSRC2:TGID_Y_EN: 0
; COMPUTE_PGM_RSRC2:TGID_Z_EN: 0
; COMPUTE_PGM_RSRC2:TIDIG_COMP_CNT: 0
; COMPUTE_PGM_RSRC3_GFX90A:ACCUM_OFFSET: 18
; COMPUTE_PGM_RSRC3_GFX90A:TG_SPLIT: 0
	.section	.text._ZN4vllm32dynamic_scaled_int8_quant_kernelIN3c108BFloat16EfEEvPKT_PaPT0_i,"axG",@progbits,_ZN4vllm32dynamic_scaled_int8_quant_kernelIN3c108BFloat16EfEEvPKT_PaPT0_i,comdat
	.protected	_ZN4vllm32dynamic_scaled_int8_quant_kernelIN3c108BFloat16EfEEvPKT_PaPT0_i ; -- Begin function _ZN4vllm32dynamic_scaled_int8_quant_kernelIN3c108BFloat16EfEEvPKT_PaPT0_i
	.globl	_ZN4vllm32dynamic_scaled_int8_quant_kernelIN3c108BFloat16EfEEvPKT_PaPT0_i
	.p2align	8
	.type	_ZN4vllm32dynamic_scaled_int8_quant_kernelIN3c108BFloat16EfEEvPKT_PaPT0_i,@function
_ZN4vllm32dynamic_scaled_int8_quant_kernelIN3c108BFloat16EfEEvPKT_PaPT0_i: ; @_ZN4vllm32dynamic_scaled_int8_quant_kernelIN3c108BFloat16EfEEvPKT_PaPT0_i
; %bb.0:
	s_load_dword s48, s[4:5], 0x18
	s_load_dword s0, s[4:5], 0x2c
	s_load_dwordx2 s[30:31], s[4:5], 0x0
	s_mov_b32 s15, 0
	s_waitcnt lgkmcnt(0)
	s_ashr_i32 s1, s48, 31
	s_and_b32 s33, s0, 0xffff
	s_mul_hi_u32 s0, s48, s6
	s_mul_i32 s1, s1, s6
	s_add_i32 s37, s0, s1
	s_mul_i32 s36, s48, s6
	s_lshl_b64 s[34:35], s[36:37], 1
	s_add_u32 s49, s30, s34
	s_addc_u32 s50, s31, s35
	s_and_b32 s14, s49, 31
	s_cmp_lg_u64 s[14:15], 0
	s_cselect_b64 s[0:1], -1, 0
	s_and_b32 s2, s48, 15
	s_cmp_lg_u32 s2, 0
	s_cselect_b64 s[2:3], -1, 0
	s_or_b64 s[12:13], s[2:3], s[0:1]
	s_and_b64 vcc, exec, s[12:13]
	s_cbranch_vccz .LBB10_14
; %bb.1:
	s_sub_i32 s0, 0, s49
	s_bfe_u32 s0, s0, 0x40001
	s_min_i32 s0, s0, s48
	v_cmp_gt_i32_e32 vcc, s0, v0
	v_mov_b32_e32 v1, 0
	s_and_saveexec_b64 s[2:3], vcc
	s_cbranch_execz .LBB10_5
; %bb.2:
	s_add_u32 s1, s30, s34
	v_lshlrev_b32_e32 v1, 1, v0
	s_addc_u32 s8, s31, s35
	s_mov_b32 s7, 0
	v_mov_b32_e32 v3, s8
	v_add_co_u32_e32 v2, vcc, s1, v1
	v_addc_co_u32_e32 v3, vcc, 0, v3, vcc
	s_lshl_b32 s1, s33, 1
	s_mov_b64 s[8:9], 0
	v_mov_b32_e32 v1, 0
	v_mov_b32_e32 v4, s7
	;; [unrolled: 1-line block ×3, first 2 shown]
.LBB10_3:                               ; =>This Inner Loop Header: Depth=1
	global_load_ushort v6, v[2:3], off
	v_add_co_u32_e32 v2, vcc, s1, v2
	v_add_u32_e32 v5, s33, v5
	v_addc_co_u32_e32 v3, vcc, v3, v4, vcc
	v_max_f32_e32 v1, v1, v1
	v_cmp_le_i32_e32 vcc, s0, v5
	s_or_b64 s[8:9], vcc, s[8:9]
	s_waitcnt vmcnt(0)
	v_lshlrev_b32_e32 v6, 16, v6
	v_max_f32_e64 v6, |v6|, |v6|
	v_max_f32_e32 v1, v1, v6
	s_andn2_b64 exec, exec, s[8:9]
	s_cbranch_execnz .LBB10_3
; %bb.4:
	s_or_b64 exec, exec, s[8:9]
.LBB10_5:
	s_or_b64 exec, exec, s[2:3]
	s_sub_i32 s7, s48, s0
	s_ashr_i32 s2, s7, 31
	s_lshr_b32 s2, s2, 28
	s_add_i32 s2, s7, s2
	s_ashr_i32 s10, s2, 4
	s_ashr_i32 s1, s0, 31
	v_cmp_gt_i32_e32 vcc, s10, v0
	s_and_saveexec_b64 s[2:3], vcc
	s_cbranch_execz .LBB10_9
; %bb.6:
	s_lshl_b64 s[8:9], s[0:1], 1
	s_add_u32 s8, s30, s8
	s_addc_u32 s9, s31, s9
	s_add_u32 s8, s8, s34
	v_lshlrev_b32_e32 v2, 5, v0
	s_addc_u32 s9, s9, s35
	s_mov_b32 s14, 0
	v_mov_b32_e32 v3, s9
	v_add_co_u32_e32 v2, vcc, s8, v2
	v_addc_co_u32_e32 v3, vcc, 0, v3, vcc
	s_lshl_b32 s11, s33, 5
	s_mov_b64 s[8:9], 0
	v_mov_b32_e32 v4, s14
	v_mov_b32_e32 v5, v0
.LBB10_7:                               ; =>This Inner Loop Header: Depth=1
	global_load_dwordx4 v[6:9], v[2:3], off
	global_load_dwordx4 v[10:13], v[2:3], off offset:16
	v_add_co_u32_e32 v2, vcc, s11, v2
	v_add_u32_e32 v5, s33, v5
	v_addc_co_u32_e32 v3, vcc, v3, v4, vcc
	v_cmp_le_i32_e32 vcc, s10, v5
	s_or_b64 s[8:9], vcc, s[8:9]
	s_waitcnt vmcnt(1)
	v_lshlrev_b32_e32 v14, 16, v6
	v_and_b32_e32 v6, 0xffff0000, v6
	v_lshlrev_b32_e32 v15, 16, v7
	v_and_b32_e32 v7, 0xffff0000, v7
	v_max3_f32 v1, v1, |v14|, |v6|
	v_lshlrev_b32_e32 v16, 16, v8
	v_and_b32_e32 v8, 0xffff0000, v8
	v_max3_f32 v1, v1, |v15|, |v7|
	;; [unrolled: 3-line block ×3, first 2 shown]
	s_waitcnt vmcnt(0)
	v_lshlrev_b32_e32 v18, 16, v10
	v_and_b32_e32 v10, 0xffff0000, v10
	v_max3_f32 v1, v1, |v17|, |v9|
	v_lshlrev_b32_e32 v19, 16, v11
	v_and_b32_e32 v11, 0xffff0000, v11
	v_max3_f32 v1, v1, |v18|, |v10|
	;; [unrolled: 3-line block ×4, first 2 shown]
	v_max3_f32 v1, v1, |v21|, |v13|
	s_andn2_b64 exec, exec, s[8:9]
	s_cbranch_execnz .LBB10_7
; %bb.8:
	s_or_b64 exec, exec, s[8:9]
.LBB10_9:
	s_or_b64 exec, exec, s[2:3]
	v_lshl_add_u32 v2, s10, 4, v0
	v_cmp_gt_i32_e32 vcc, s7, v2
	s_and_saveexec_b64 s[2:3], vcc
	s_cbranch_execz .LBB10_13
; %bb.10:
	s_lshl_b64 s[0:1], s[0:1], 1
	s_add_u32 s0, s34, s0
	s_addc_u32 s1, s35, s1
	v_ashrrev_i32_e32 v3, 31, v2
	s_add_u32 s0, s30, s0
	v_lshlrev_b64 v[4:5], 1, v[2:3]
	s_addc_u32 s1, s31, s1
	v_mov_b32_e32 v3, s1
	v_add_co_u32_e32 v4, vcc, s0, v4
	s_mov_b32 s9, 0
	v_addc_co_u32_e32 v5, vcc, v3, v5, vcc
	s_lshl_b32 s8, s33, 1
	s_mov_b64 s[0:1], 0
	v_mov_b32_e32 v3, s9
.LBB10_11:                              ; =>This Inner Loop Header: Depth=1
	global_load_ushort v6, v[4:5], off
	v_add_co_u32_e32 v4, vcc, s8, v4
	v_add_u32_e32 v2, s33, v2
	v_addc_co_u32_e32 v5, vcc, v5, v3, vcc
	v_max_f32_e32 v1, v1, v1
	v_cmp_le_i32_e32 vcc, s7, v2
	s_or_b64 s[0:1], vcc, s[0:1]
	s_waitcnt vmcnt(0)
	v_lshlrev_b32_e32 v6, 16, v6
	v_max_f32_e64 v6, |v6|, |v6|
	v_max_f32_e32 v1, v1, v6
	s_andn2_b64 exec, exec, s[0:1]
	s_cbranch_execnz .LBB10_11
; %bb.12:
	s_or_b64 exec, exec, s[0:1]
.LBB10_13:
	s_or_b64 exec, exec, s[2:3]
	s_branch .LBB10_20
.LBB10_14:
                                        ; implicit-def: $vgpr1
	s_cbranch_execz .LBB10_20
; %bb.15:
	s_ashr_i32 s7, s48, 4
	v_cmp_gt_i32_e32 vcc, s7, v0
	v_mov_b32_e32 v1, 0
	s_and_saveexec_b64 s[0:1], vcc
	s_cbranch_execz .LBB10_19
; %bb.16:
	s_add_u32 s2, s30, s34
	v_lshlrev_b32_e32 v1, 5, v0
	s_addc_u32 s3, s31, s35
	s_mov_b32 s9, 0
	v_mov_b32_e32 v3, s3
	v_add_co_u32_e32 v2, vcc, s2, v1
	v_addc_co_u32_e32 v3, vcc, 0, v3, vcc
	s_lshl_b32 s8, s33, 5
	s_mov_b64 s[2:3], 0
	v_mov_b32_e32 v1, 0
	v_mov_b32_e32 v4, s9
	;; [unrolled: 1-line block ×3, first 2 shown]
.LBB10_17:                              ; =>This Inner Loop Header: Depth=1
	global_load_dwordx4 v[6:9], v[2:3], off
	global_load_dwordx4 v[10:13], v[2:3], off offset:16
	v_add_co_u32_e32 v2, vcc, s8, v2
	v_add_u32_e32 v5, s33, v5
	v_addc_co_u32_e32 v3, vcc, v3, v4, vcc
	v_cmp_le_i32_e32 vcc, s7, v5
	s_or_b64 s[2:3], vcc, s[2:3]
	s_waitcnt vmcnt(1)
	v_lshlrev_b32_e32 v14, 16, v6
	v_and_b32_e32 v6, 0xffff0000, v6
	v_lshlrev_b32_e32 v15, 16, v7
	v_and_b32_e32 v7, 0xffff0000, v7
	v_max3_f32 v1, v1, |v14|, |v6|
	v_lshlrev_b32_e32 v16, 16, v8
	v_and_b32_e32 v8, 0xffff0000, v8
	v_max3_f32 v1, v1, |v15|, |v7|
	v_lshlrev_b32_e32 v17, 16, v9
	v_and_b32_e32 v9, 0xffff0000, v9
	v_max3_f32 v1, v1, |v16|, |v8|
	s_waitcnt vmcnt(0)
	v_lshlrev_b32_e32 v18, 16, v10
	v_and_b32_e32 v10, 0xffff0000, v10
	v_max3_f32 v1, v1, |v17|, |v9|
	v_lshlrev_b32_e32 v19, 16, v11
	v_and_b32_e32 v11, 0xffff0000, v11
	v_max3_f32 v1, v1, |v18|, |v10|
	;; [unrolled: 3-line block ×4, first 2 shown]
	v_max3_f32 v1, v1, |v21|, |v13|
	s_andn2_b64 exec, exec, s[2:3]
	s_cbranch_execnz .LBB10_17
; %bb.18:
	s_or_b64 exec, exec, s[2:3]
.LBB10_19:
	s_or_b64 exec, exec, s[0:1]
.LBB10_20:
	v_mbcnt_lo_u32_b32 v2, -1, 0
	v_mbcnt_hi_u32_b32 v2, -1, v2
	v_and_b32_e32 v3, 63, v2
	v_cmp_ne_u32_e32 vcc, 63, v3
	v_addc_co_u32_e32 v4, vcc, 0, v2, vcc
	v_lshlrev_b32_e32 v4, 2, v4
	ds_bpermute_b32 v4, v4, v1
	v_and_b32_e32 v5, 0x3c0, v0
	v_sub_u32_e64 v5, s33, v5 clamp
	v_add_u32_e32 v6, 1, v2
	v_cmp_gt_u32_e64 s[0:1], 62, v3
	s_waitcnt lgkmcnt(0)
	v_cmp_lt_f32_e32 vcc, v1, v4
	v_cndmask_b32_e32 v4, v1, v4, vcc
	v_cmp_lt_u32_e32 vcc, v6, v5
	v_cndmask_b32_e64 v6, 0, 1, s[0:1]
	v_lshlrev_b32_e32 v6, 1, v6
	v_cndmask_b32_e32 v4, v1, v4, vcc
	v_add_lshl_u32 v6, v6, v2, 2
	ds_bpermute_b32 v6, v6, v4
	v_add_u32_e32 v7, 2, v2
	v_cmp_gt_u32_e64 s[2:3], 60, v3
	v_cmp_gt_u32_e64 s[8:9], 56, v3
	v_cmp_gt_u32_e64 s[10:11], 48, v3
	s_waitcnt lgkmcnt(0)
	v_cmp_lt_f32_e64 s[0:1], v4, v6
	v_cndmask_b32_e64 v6, v4, v6, s[0:1]
	v_cmp_lt_u32_e64 s[0:1], v7, v5
	v_cndmask_b32_e64 v4, v4, v6, s[0:1]
	v_cndmask_b32_e64 v6, 0, 1, s[2:3]
	v_lshlrev_b32_e32 v6, 2, v6
	v_add_lshl_u32 v6, v6, v2, 2
	ds_bpermute_b32 v6, v6, v4
	v_add_u32_e32 v7, 4, v2
	s_or_b64 s[0:1], vcc, s[0:1]
	s_waitcnt lgkmcnt(0)
	v_cmp_lt_f32_e64 s[2:3], v4, v6
	v_cndmask_b32_e64 v6, v4, v6, s[2:3]
	v_cmp_lt_u32_e64 s[2:3], v7, v5
	v_cndmask_b32_e64 v4, v4, v6, s[2:3]
	v_cndmask_b32_e64 v6, 0, 1, s[8:9]
	v_lshlrev_b32_e32 v6, 3, v6
	v_add_lshl_u32 v6, v6, v2, 2
	ds_bpermute_b32 v6, v6, v4
	v_add_u32_e32 v7, 8, v2
	s_or_b64 s[2:3], s[2:3], s[0:1]
	v_cmp_gt_u32_e64 s[0:1], 32, v3
	v_cndmask_b32_e64 v3, 0, 1, s[0:1]
	s_waitcnt lgkmcnt(0)
	v_cmp_lt_f32_e64 s[8:9], v4, v6
	v_cndmask_b32_e64 v6, v4, v6, s[8:9]
	v_cmp_lt_u32_e64 s[8:9], v7, v5
	v_cndmask_b32_e64 v4, v4, v6, s[8:9]
	v_cndmask_b32_e64 v6, 0, 1, s[10:11]
	v_lshlrev_b32_e32 v6, 4, v6
	v_add_lshl_u32 v6, v6, v2, 2
	ds_bpermute_b32 v6, v6, v4
	v_add_u32_e32 v7, 16, v2
	v_lshlrev_b32_e32 v3, 5, v3
	v_add_lshl_u32 v3, v3, v2, 2
	s_or_b64 s[0:1], s[8:9], s[2:3]
	s_waitcnt lgkmcnt(0)
	v_cmp_lt_f32_e32 vcc, v4, v6
	v_cndmask_b32_e32 v6, v4, v6, vcc
	v_cmp_lt_u32_e32 vcc, v7, v5
	v_cndmask_b32_e32 v4, v4, v6, vcc
	ds_bpermute_b32 v3, v3, v4
	v_add_u32_e32 v6, 32, v2
	s_or_b64 s[2:3], vcc, s[0:1]
	v_cmp_lt_u32_e32 vcc, v6, v5
	s_waitcnt lgkmcnt(0)
	v_cmp_lt_f32_e64 s[0:1], v4, v3
	s_and_b64 s[0:1], vcc, s[0:1]
	v_cndmask_b32_e64 v3, v4, v3, s[0:1]
	s_or_b64 vcc, vcc, s[2:3]
	v_cndmask_b32_e32 v1, v1, v3, vcc
	v_cmp_eq_u32_e32 vcc, 0, v2
	s_and_saveexec_b64 s[0:1], vcc
	s_cbranch_execz .LBB10_22
; %bb.21:
	v_lshrrev_b32_e32 v3, 4, v0
	v_and_b32_e32 v3, 60, v3
	ds_write_b32 v3, v1
.LBB10_22:
	s_or_b64 exec, exec, s[0:1]
	v_cmp_gt_u32_e32 vcc, 4, v0
	s_waitcnt lgkmcnt(0)
	s_barrier
	s_and_saveexec_b64 s[8:9], vcc
	s_cbranch_execz .LBB10_24
; %bb.23:
	v_lshlrev_b32_e32 v1, 2, v2
	ds_read_b32 v1, v1
	v_and_b32_e32 v3, 3, v2
	v_cmp_ne_u32_e32 vcc, 3, v3
	v_addc_co_u32_e32 v4, vcc, 0, v2, vcc
	v_lshlrev_b32_e32 v4, 2, v4
	s_waitcnt lgkmcnt(0)
	ds_bpermute_b32 v4, v4, v1
	s_add_i32 s0, s33, 63
	s_lshr_b32 s2, s0, 6
	v_cmp_gt_u32_e64 s[0:1], 2, v3
	v_add_u32_e32 v5, 1, v3
	s_waitcnt lgkmcnt(0)
	v_cmp_lt_f32_e32 vcc, v1, v4
	v_cndmask_b32_e64 v6, 0, 1, s[0:1]
	v_cndmask_b32_e32 v4, v1, v4, vcc
	v_cmp_gt_u32_e32 vcc, s2, v5
	v_lshlrev_b32_e32 v6, 1, v6
	v_cndmask_b32_e32 v5, v1, v4, vcc
	v_add_lshl_u32 v2, v6, v2, 2
	ds_bpermute_b32 v2, v2, v5
	v_add_u32_e32 v3, 2, v3
	v_cmp_gt_u32_e64 s[0:1], s2, v3
	s_waitcnt lgkmcnt(0)
	v_cmp_lt_f32_e64 s[2:3], v4, v2
	s_and_b64 s[0:1], s[0:1], s[2:3]
	v_cndmask_b32_e64 v2, v4, v2, s[0:1]
	v_cndmask_b32_e32 v1, v1, v2, vcc
.LBB10_24:
	s_or_b64 exec, exec, s[8:9]
	s_load_dwordx2 s[38:39], s[4:5], 0x8
	v_cmp_eq_u32_e32 vcc, 0, v0
	s_and_saveexec_b64 s[0:1], vcc
	s_cbranch_execz .LBB10_26
; %bb.25:
	s_mov_b32 s8, 0x42fe0000
	v_div_scale_f32 v2, s[2:3], s8, s8, v1
	v_rcp_f32_e32 v3, v2
	s_load_dwordx2 s[2:3], s[4:5], 0x10
	s_mov_b32 s7, s15
	s_lshl_b64 s[4:5], s[6:7], 2
	v_fma_f32 v5, -v2, v3, 1.0
	v_fmac_f32_e32 v3, v5, v3
	v_div_scale_f32 v5, vcc, v1, s8, v1
	v_mul_f32_e32 v6, v5, v3
	v_fma_f32 v7, -v2, v6, v5
	v_fmac_f32_e32 v6, v7, v3
	v_fma_f32 v2, -v2, v6, v5
	v_mov_b32_e32 v4, 0
	v_div_fmas_f32 v2, v2, v3, v6
	s_waitcnt lgkmcnt(0)
	s_add_u32 s2, s2, s4
	ds_write_b32 v4, v1 offset:16
	v_div_fixup_f32 v1, v2, s8, v1
	s_addc_u32 s3, s3, s5
	global_store_dword v4, v1, s[2:3]
.LBB10_26:
	s_or_b64 exec, exec, s[0:1]
	v_mov_b32_e32 v1, 0
	s_waitcnt lgkmcnt(0)
	s_barrier
	ds_read_b32 v1, v1 offset:16
	s_mov_b32 s2, 0x42fe0000
	s_waitcnt lgkmcnt(0)
	v_div_scale_f32 v2, s[0:1], v1, v1, s2
	v_rcp_f32_e32 v3, v2
	v_div_scale_f32 v4, vcc, s2, v1, s2
	s_mov_b64 s[0:1], -1
	v_fma_f32 v5, -v2, v3, 1.0
	v_fmac_f32_e32 v3, v5, v3
	v_mul_f32_e32 v5, v4, v3
	v_fma_f32 v6, -v2, v5, v4
	v_fmac_f32_e32 v5, v6, v3
	v_fma_f32 v2, -v2, v5, v4
	v_div_fmas_f32 v2, v2, v3, v5
	v_div_fixup_f32 v2, v2, v1, s2
	v_cmp_neq_f32_e32 vcc, 0, v1
	v_cndmask_b32_e32 v6, 0, v2, vcc
	s_and_b64 vcc, exec, s[12:13]
	s_cbranch_vccz .LBB10_47
; %bb.27:
	s_add_u32 s42, s38, s36
	s_addc_u32 s43, s39, s37
	s_sub_i32 s0, 0, s49
	v_cvt_f32_u32_e32 v1, s33
	s_bfe_u32 s0, s0, 0x40001
	s_min_i32 s40, s0, s48
	v_cmp_gt_i32_e32 vcc, s40, v0
	s_and_saveexec_b64 s[2:3], vcc
	s_cbranch_execz .LBB10_35
; %bb.28:
	v_rcp_iflag_f32_e32 v2, v1
	v_add_u32_e32 v3, s33, v0
	v_mov_b32_e32 v4, s33
	v_cmp_gt_i32_e32 vcc, s40, v3
	v_mul_f32_e32 v2, 0x4f7ffffe, v2
	v_cvt_u32_f32_e32 v2, v2
	v_max_i32_e32 v5, s40, v3
	v_addc_co_u32_e64 v3, s[0:1], v0, v4, vcc
	s_sub_i32 s0, 0, s33
	v_mul_lo_u32 v4, s0, v2
	v_mul_hi_u32 v4, v2, v4
	v_sub_u32_e32 v3, v5, v3
	v_add_u32_e32 v2, v2, v4
	v_mul_hi_u32 v2, v3, v2
	v_mul_lo_u32 v4, v2, s33
	v_sub_u32_e32 v3, v3, v4
	v_add_u32_e32 v4, 1, v2
	v_cmp_le_u32_e64 s[0:1], s33, v3
	v_cndmask_b32_e64 v2, v2, v4, s[0:1]
	v_subrev_u32_e32 v4, s33, v3
	v_cndmask_b32_e64 v3, v3, v4, s[0:1]
	v_add_u32_e32 v4, 1, v2
	v_cmp_le_u32_e64 s[0:1], s33, v3
	v_cndmask_b32_e64 v2, v2, v4, s[0:1]
	v_addc_co_u32_e32 v8, vcc, 1, v2, vcc
	s_cmp_eq_u32 s33, 1
	v_cmp_lt_u32_e32 vcc, 3, v8
	s_cselect_b64 s[0:1], -1, 0
	s_and_b64 s[6:7], vcc, s[0:1]
	s_mov_b64 s[4:5], -1
	v_mov_b32_e32 v2, v0
	s_and_saveexec_b64 s[0:1], s[6:7]
	s_cbranch_execz .LBB10_32
; %bb.29:
	v_and_b32_e32 v9, -4, v8
	v_mov_b32_e32 v7, v6
	s_mov_b64 s[4:5], 0
	v_mov_b32_e32 v3, 0
	v_mov_b32_e32 v10, s50
	;; [unrolled: 1-line block ×4, first 2 shown]
	s_mov_b32 s6, 0x42fe0000
	v_mov_b32_e32 v11, 0x42fe0000
	s_mov_b32 s7, 0xc3000000
	v_mov_b32_e32 v12, 0xc3000000
	v_mov_b32_e32 v2, v0
	;; [unrolled: 1-line block ×3, first 2 shown]
.LBB10_30:                              ; =>This Inner Loop Header: Depth=1
	v_lshlrev_b64 v[14:15], 1, v[2:3]
	v_add_co_u32_e32 v14, vcc, s49, v14
	v_addc_co_u32_e32 v15, vcc, v10, v15, vcc
	global_load_dwordx2 v[14:15], v[14:15], off
	v_add_u32_e32 v13, -4, v13
	s_waitcnt vmcnt(0)
	v_and_b32_e32 v17, 0xffff0000, v15
	v_lshlrev_b32_e32 v16, 16, v15
	v_and_b32_e32 v15, 0xffff0000, v14
	v_lshlrev_b32_e32 v14, 16, v14
	v_pk_mul_f32 v[14:15], v[6:7], v[14:15]
	v_rndne_f32_e32 v15, v15
	v_pk_mul_f32 v[16:17], v[4:5], v[16:17]
	v_rndne_f32_e32 v14, v14
	v_cmp_nlt_f32_e32 vcc, s6, v15
	v_rndne_f32_e32 v17, v17
	v_cndmask_b32_e32 v18, v11, v15, vcc
	v_cmp_nlt_f32_e32 vcc, s6, v14
	v_rndne_f32_e32 v16, v16
	v_cndmask_b32_e32 v19, v11, v14, vcc
	v_cmp_nlt_f32_e32 vcc, s6, v17
	v_cndmask_b32_e32 v20, v11, v17, vcc
	v_cmp_nlt_f32_e32 vcc, s6, v16
	v_cndmask_b32_e32 v21, v11, v16, vcc
	v_cmp_ngt_f32_e32 vcc, s7, v16
	v_cndmask_b32_e32 v16, v12, v21, vcc
	v_cmp_ngt_f32_e32 vcc, s7, v17
	;; [unrolled: 2-line block ×4, first 2 shown]
	v_cndmask_b32_e32 v15, v12, v18, vcc
	v_cvt_i32_f32_sdwa v15, v15 dst_sel:BYTE_1 dst_unused:UNUSED_PAD src0_sel:DWORD
	v_cvt_i32_f32_e32 v14, v14
	v_cvt_i32_f32_sdwa v17, v17 dst_sel:BYTE_1 dst_unused:UNUSED_PAD src0_sel:DWORD
	v_cvt_i32_f32_e32 v16, v16
	v_cmp_eq_u32_e32 vcc, 0, v13
	v_or_b32_sdwa v14, v14, v15 dst_sel:DWORD dst_unused:UNUSED_PAD src0_sel:BYTE_0 src1_sel:DWORD
	s_or_b64 s[4:5], vcc, s[4:5]
	v_or_b32_sdwa v15, v16, v17 dst_sel:WORD_1 dst_unused:UNUSED_PAD src0_sel:BYTE_0 src1_sel:DWORD
	v_or_b32_sdwa v14, v14, v15 dst_sel:DWORD dst_unused:UNUSED_PAD src0_sel:WORD_0 src1_sel:DWORD
	global_store_dword v2, v14, s[42:43]
	v_add_u32_e32 v2, 4, v2
	s_andn2_b64 exec, exec, s[4:5]
	s_cbranch_execnz .LBB10_30
; %bb.31:
	s_or_b64 exec, exec, s[4:5]
	v_cmp_ne_u32_e32 vcc, v8, v9
	v_add_u32_e32 v2, v0, v9
	s_orn2_b64 s[4:5], vcc, exec
.LBB10_32:
	s_or_b64 exec, exec, s[0:1]
	s_and_b64 exec, exec, s[4:5]
	s_cbranch_execz .LBB10_35
; %bb.33:
	v_mov_b32_e32 v3, 0
	s_add_u32 s1, s30, s34
	v_lshlrev_b64 v[4:5], 1, v[2:3]
	s_addc_u32 s4, s31, s35
	s_mov_b32 s0, 0
	v_mov_b32_e32 v7, s4
	v_add_co_u32_e32 v4, vcc, s1, v4
	v_addc_co_u32_e32 v5, vcc, v7, v5, vcc
	s_lshl_b32 s6, s33, 1
	s_mov_b64 s[4:5], 0
	v_mov_b32_e32 v7, s43
	s_mov_b32 s7, 0x42fe0000
	v_mov_b32_e32 v8, 0x42fe0000
	s_mov_b32 s8, 0xc3000000
	v_mov_b32_e32 v9, 0xc3000000
	v_mov_b32_e32 v10, s0
	;; [unrolled: 1-line block ×3, first 2 shown]
.LBB10_34:                              ; =>This Inner Loop Header: Depth=1
	global_load_ushort v14, v[4:5], off
	v_add_co_u32_e32 v12, vcc, s42, v2
	v_addc_co_u32_e32 v13, vcc, v7, v3, vcc
	v_add_co_u32_e32 v2, vcc, s33, v2
	v_addc_co_u32_e32 v3, vcc, v3, v10, vcc
	v_add_co_u32_e32 v4, vcc, s6, v4
	v_addc_co_u32_e32 v5, vcc, v5, v11, vcc
	v_cmp_le_i32_e32 vcc, s40, v2
	s_or_b64 s[4:5], vcc, s[4:5]
	s_waitcnt vmcnt(0)
	v_lshlrev_b32_e32 v14, 16, v14
	v_mul_f32_e32 v14, v6, v14
	v_rndne_f32_e32 v14, v14
	v_cmp_nlt_f32_e64 s[0:1], s7, v14
	v_cndmask_b32_e64 v15, v8, v14, s[0:1]
	v_cmp_ngt_f32_e64 s[0:1], s8, v14
	v_cndmask_b32_e64 v14, v9, v15, s[0:1]
	v_cvt_i32_f32_e32 v14, v14
	global_store_byte v[12:13], v14, off
	s_andn2_b64 exec, exec, s[4:5]
	s_cbranch_execnz .LBB10_34
.LBB10_35:
	s_or_b64 exec, exec, s[2:3]
	s_sub_i32 s51, s48, s40
	s_ashr_i32 s0, s51, 31
	s_lshr_b32 s0, s0, 28
	s_add_i32 s0, s51, s0
	s_ashr_i32 s52, s0, 4
	s_ashr_i32 s41, s40, 31
	v_cmp_gt_i32_e32 vcc, s52, v0
	s_and_saveexec_b64 s[44:45], vcc
	s_cbranch_execz .LBB10_38
; %bb.36:
	s_add_u32 s0, s40, s36
	s_addc_u32 s1, s41, s37
	s_add_u32 s0, s38, s0
	v_lshlrev_b32_e32 v2, 4, v0
	s_addc_u32 s1, s39, s1
	v_mov_b32_e32 v3, s1
	v_add_co_u32_e32 v2, vcc, s0, v2
	s_lshl_b32 s53, s33, 4
	s_lshl_b64 s[0:1], s[40:41], 1
	s_add_u32 s0, s30, s0
	v_addc_co_u32_e32 v3, vcc, 0, v3, vcc
	s_addc_u32 s1, s31, s1
	v_add_co_u32_e32 v8, vcc, 8, v2
	s_add_u32 s0, s0, s34
	v_addc_co_u32_e32 v9, vcc, 0, v3, vcc
	v_lshlrev_b32_e32 v2, 5, v0
	s_addc_u32 s1, s1, s35
	v_mov_b32_e32 v3, s1
	v_add_co_u32_e32 v2, vcc, s0, v2
	v_addc_co_u32_e32 v3, vcc, 0, v3, vcc
	s_mov_b32 s2, 0
	v_add_co_u32_e32 v10, vcc, 16, v2
	v_mov_b32_e32 v7, v6
	v_addc_co_u32_e32 v11, vcc, 0, v3, vcc
	s_lshl_b32 s54, s33, 5
	s_mov_b64 s[46:47], 0
	v_mov_b32_e32 v12, v6
	v_mov_b32_e32 v13, v6
	s_mov_b32 s55, 0x42fe0000
	v_mov_b32_e32 v14, 0x42fe0000
	s_mov_b32 s56, 0xc3000000
	v_mov_b32_e32 v15, 0xc3000000
	v_mov_b32_e32 v16, s2
	;; [unrolled: 1-line block ×4, first 2 shown]
.LBB10_37:                              ; =>This Inner Loop Header: Depth=1
	global_load_dwordx4 v[2:5], v[10:11], off offset:-16
	global_load_dwordx4 v[20:23], v[10:11], off
	v_add_co_u32_e32 v10, vcc, s54, v10
	v_add_u32_e32 v18, s33, v18
	v_addc_co_u32_e32 v11, vcc, v11, v17, vcc
	v_cmp_le_i32_e32 vcc, s52, v18
	s_or_b64 s[46:47], vcc, s[46:47]
	s_waitcnt vmcnt(1)
	v_and_b32_e32 v31, 0xffff0000, v4
	v_lshlrev_b32_e32 v30, 16, v4
	v_and_b32_e32 v25, 0xffff0000, v2
	v_and_b32_e32 v27, 0xffff0000, v3
	;; [unrolled: 1-line block ×3, first 2 shown]
	v_lshlrev_b32_e32 v24, 16, v2
	v_lshlrev_b32_e32 v26, 16, v3
	;; [unrolled: 1-line block ×3, first 2 shown]
	s_waitcnt vmcnt(0)
	v_and_b32_e32 v3, 0xffff0000, v20
	v_and_b32_e32 v5, 0xffff0000, v21
	v_lshlrev_b32_e32 v2, 16, v20
	v_lshlrev_b32_e32 v4, 16, v21
	v_pk_mul_f32 v[20:21], v[12:13], v[30:31]
	v_and_b32_e32 v33, 0xffff0000, v23
	v_lshlrev_b32_e32 v32, 16, v23
	v_rndne_f32_e32 v21, v21
	v_and_b32_e32 v35, 0xffff0000, v22
	v_lshlrev_b32_e32 v34, 16, v22
	v_pk_mul_f32 v[22:23], v[12:13], v[28:29]
	v_pk_mul_f32 v[26:27], v[12:13], v[26:27]
	;; [unrolled: 1-line block ×3, first 2 shown]
	v_rndne_f32_e32 v20, v20
	v_cmp_nlt_f32_e32 vcc, s55, v21
	v_pk_mul_f32 v[28:29], v[12:13], v[34:35]
	v_rndne_f32_e32 v19, v26
	v_rndne_f32_e32 v26, v27
	;; [unrolled: 1-line block ×5, first 2 shown]
	v_cndmask_b32_e32 v31, v14, v21, vcc
	v_cmp_nlt_f32_e32 vcc, s55, v20
	v_rndne_f32_e32 v22, v22
	v_rndne_f32_e32 v29, v29
	v_cndmask_b32_e32 v32, v14, v20, vcc
	v_cmp_nlt_f32_e32 vcc, s55, v23
	v_rndne_f32_e32 v28, v28
	v_cndmask_b32_e32 v33, v14, v23, vcc
	v_cmp_nlt_f32_e32 vcc, s55, v22
	v_cmp_nlt_f32_e64 s[12:13], s55, v29
	v_pk_mul_f32 v[24:25], v[6:7], v[24:25]
	v_cndmask_b32_e32 v34, v14, v22, vcc
	v_cmp_nlt_f32_e32 vcc, s55, v26
	v_cmp_ngt_f32_e64 s[4:5], s56, v20
	v_cndmask_b32_e64 v20, v14, v29, s[12:13]
	v_cmp_nlt_f32_e64 s[12:13], s55, v28
	v_pk_mul_f32 v[4:5], v[12:13], v[4:5]
	v_rndne_f32_e32 v25, v25
	v_cndmask_b32_e32 v35, v14, v26, vcc
	v_cmp_nlt_f32_e32 vcc, s55, v19
	v_cmp_ngt_f32_e64 s[6:7], s56, v21
	v_cndmask_b32_e64 v21, v14, v28, s[12:13]
	v_cmp_nlt_f32_e64 s[12:13], s55, v30
	v_rndne_f32_e32 v24, v24
	v_rndne_f32_e32 v5, v5
	v_cndmask_b32_e32 v36, v14, v19, vcc
	v_cmp_nlt_f32_e32 vcc, s55, v25
	v_cmp_ngt_f32_e64 s[0:1], s56, v22
	v_cndmask_b32_e64 v22, v14, v30, s[12:13]
	v_cmp_nlt_f32_e64 s[12:13], s55, v27
	v_pk_mul_f32 v[2:3], v[6:7], v[2:3]
	v_rndne_f32_e32 v4, v4
	v_cndmask_b32_e32 v37, v14, v25, vcc
	v_cmp_nlt_f32_e32 vcc, s55, v24
	v_cmp_ngt_f32_e64 s[2:3], s56, v23
	v_cndmask_b32_e64 v23, v14, v27, s[12:13]
	v_cmp_nlt_f32_e64 s[12:13], s55, v5
	v_rndne_f32_e32 v3, v3
	v_cndmask_b32_e32 v38, v14, v24, vcc
	v_cmp_ngt_f32_e64 s[8:9], s56, v24
	v_cndmask_b32_e64 v24, v14, v5, s[12:13]
	v_cmp_nlt_f32_e64 s[12:13], s55, v4
	v_rndne_f32_e32 v2, v2
	v_cmp_ngt_f32_e64 s[10:11], s56, v25
	v_cndmask_b32_e64 v25, v14, v4, s[12:13]
	v_cmp_nlt_f32_e64 s[12:13], s55, v3
	v_cmp_ngt_f32_e32 vcc, s56, v26
	v_cndmask_b32_e64 v26, v14, v3, s[12:13]
	v_cmp_nlt_f32_e64 s[12:13], s55, v2
	v_cndmask_b32_e64 v39, v14, v2, s[12:13]
	v_cmp_ngt_f32_e64 s[12:13], s56, v4
	v_cmp_ngt_f32_e64 s[14:15], s56, v5
	;; [unrolled: 1-line block ×9, first 2 shown]
	v_cndmask_b32_e64 v2, v15, v36, s[28:29]
	v_cndmask_b32_e32 v3, v15, v35, vcc
	v_cndmask_b32_e64 v4, v15, v34, s[0:1]
	v_cndmask_b32_e64 v5, v15, v33, s[2:3]
	;; [unrolled: 1-line block ×14, first 2 shown]
	v_cvt_i32_f32_sdwa v27, v27 dst_sel:BYTE_1 dst_unused:UNUSED_PAD src0_sel:DWORD
	v_cvt_i32_f32_e32 v19, v19
	v_cvt_i32_f32_sdwa v5, v5 dst_sel:BYTE_1 dst_unused:UNUSED_PAD src0_sel:DWORD
	v_cvt_i32_f32_e32 v4, v4
	;; [unrolled: 2-line block ×8, first 2 shown]
	v_or_b32_sdwa v19, v19, v27 dst_sel:DWORD dst_unused:UNUSED_PAD src0_sel:BYTE_0 src1_sel:DWORD
	v_or_b32_sdwa v4, v4, v5 dst_sel:WORD_1 dst_unused:UNUSED_PAD src0_sel:BYTE_0 src1_sel:DWORD
	v_or_b32_sdwa v2, v2, v3 dst_sel:WORD_1 dst_unused:UNUSED_PAD src0_sel:BYTE_0 src1_sel:DWORD
	v_or_b32_sdwa v5, v28, v29 dst_sel:DWORD dst_unused:UNUSED_PAD src0_sel:BYTE_0 src1_sel:DWORD
	v_or_b32_sdwa v20, v21, v20 dst_sel:DWORD dst_unused:UNUSED_PAD src0_sel:BYTE_0 src1_sel:DWORD
	v_or_b32_sdwa v21, v23, v22 dst_sel:WORD_1 dst_unused:UNUSED_PAD src0_sel:BYTE_0 src1_sel:DWORD
	v_or_b32_sdwa v22, v25, v24 dst_sel:WORD_1 dst_unused:UNUSED_PAD src0_sel:BYTE_0 src1_sel:DWORD
	v_or_b32_sdwa v23, v30, v26 dst_sel:DWORD dst_unused:UNUSED_PAD src0_sel:BYTE_0 src1_sel:DWORD
	v_or_b32_sdwa v3, v19, v4 dst_sel:DWORD dst_unused:UNUSED_PAD src0_sel:WORD_0 src1_sel:DWORD
	v_or_b32_sdwa v2, v5, v2 dst_sel:DWORD dst_unused:UNUSED_PAD src0_sel:WORD_0 src1_sel:DWORD
	;; [unrolled: 1-line block ×4, first 2 shown]
	global_store_dwordx4 v[8:9], v[2:5], off offset:-8
	v_add_co_u32_e32 v8, vcc, s53, v8
	v_addc_co_u32_e32 v9, vcc, v9, v16, vcc
	s_andn2_b64 exec, exec, s[46:47]
	s_cbranch_execnz .LBB10_37
.LBB10_38:
	s_or_b64 exec, exec, s[44:45]
	v_lshl_add_u32 v2, s52, 4, v0
	v_cmp_gt_i32_e32 vcc, s51, v2
	s_and_saveexec_b64 s[2:3], vcc
	s_cbranch_execz .LBB10_46
; %bb.39:
	v_rcp_iflag_f32_e32 v1, v1
	v_add_u32_e32 v3, s33, v2
	v_mov_b32_e32 v5, s33
	v_cmp_gt_i32_e32 vcc, s51, v3
	v_mul_f32_e32 v1, 0x4f7ffffe, v1
	v_cvt_u32_f32_e32 v1, v1
	s_add_u32 s6, s42, s40
	v_max_i32_e32 v4, s51, v3
	v_addc_co_u32_e64 v3, s[0:1], v2, v5, vcc
	s_addc_u32 s7, s43, s41
	s_sub_i32 s0, 0, s33
	v_sub_u32_e32 v3, v4, v3
	v_mul_lo_u32 v4, s0, v1
	v_mul_hi_u32 v4, v1, v4
	v_add_u32_e32 v1, v1, v4
	v_mul_hi_u32 v1, v3, v1
	v_mul_lo_u32 v4, v1, s33
	v_sub_u32_e32 v3, v3, v4
	v_add_u32_e32 v4, 1, v1
	v_cmp_le_u32_e64 s[0:1], s33, v3
	v_cndmask_b32_e64 v1, v1, v4, s[0:1]
	v_subrev_u32_e32 v4, s33, v3
	v_cndmask_b32_e64 v3, v3, v4, s[0:1]
	v_add_u32_e32 v4, 1, v1
	v_cmp_le_u32_e64 s[0:1], s33, v3
	v_cndmask_b32_e64 v1, v1, v4, s[0:1]
	v_addc_co_u32_e32 v1, vcc, 1, v1, vcc
	s_cmp_eq_u32 s33, 1
	v_cmp_lt_u32_e32 vcc, 3, v1
	s_cselect_b64 s[0:1], -1, 0
	s_and_b64 s[8:9], vcc, s[0:1]
	s_mov_b64 s[4:5], -1
	s_and_saveexec_b64 s[0:1], s[8:9]
	s_cbranch_execz .LBB10_43
; %bb.40:
	s_lshl_b64 s[4:5], s[40:41], 1
	s_add_u32 s8, s49, s4
	s_addc_u32 s9, s50, s5
	v_and_b32_e32 v3, -4, v1
	v_mov_b32_e32 v7, v6
	s_mov_b64 s[4:5], 0
	v_mov_b32_e32 v10, s7
	v_mov_b32_e32 v11, s9
	;; [unrolled: 1-line block ×4, first 2 shown]
	s_mov_b32 s9, 0x42fe0000
	v_mov_b32_e32 v12, 0x42fe0000
	s_mov_b32 s10, 0xc3000000
	v_mov_b32_e32 v13, 0xc3000000
	v_mov_b32_e32 v8, v2
	;; [unrolled: 1-line block ×3, first 2 shown]
.LBB10_41:                              ; =>This Inner Loop Header: Depth=1
	v_ashrrev_i32_e32 v9, 31, v8
	v_lshlrev_b64 v[16:17], 1, v[8:9]
	v_add_co_u32_e32 v16, vcc, s8, v16
	v_addc_co_u32_e32 v17, vcc, v11, v17, vcc
	global_load_dwordx2 v[16:17], v[16:17], off
	v_add_co_u32_e32 v18, vcc, s6, v8
	v_addc_co_u32_e32 v19, vcc, v10, v9, vcc
	v_add_u32_e32 v14, -4, v14
	v_add_u32_e32 v8, 4, v8
	s_waitcnt vmcnt(0)
	v_and_b32_e32 v21, 0xffff0000, v17
	v_lshlrev_b32_e32 v20, 16, v17
	v_and_b32_e32 v17, 0xffff0000, v16
	v_lshlrev_b32_e32 v16, 16, v16
	v_pk_mul_f32 v[16:17], v[6:7], v[16:17]
	v_rndne_f32_e32 v17, v17
	v_pk_mul_f32 v[20:21], v[4:5], v[20:21]
	v_rndne_f32_e32 v16, v16
	v_cmp_nlt_f32_e32 vcc, s9, v17
	v_rndne_f32_e32 v9, v20
	v_rndne_f32_e32 v15, v21
	v_cndmask_b32_e32 v20, v12, v17, vcc
	v_cmp_nlt_f32_e32 vcc, s9, v16
	v_cndmask_b32_e32 v21, v12, v16, vcc
	v_cmp_nlt_f32_e32 vcc, s9, v15
	;; [unrolled: 2-line block ×3, first 2 shown]
	v_cndmask_b32_e32 v23, v12, v9, vcc
	v_cmp_ngt_f32_e32 vcc, s10, v9
	v_cndmask_b32_e32 v9, v13, v23, vcc
	v_cmp_ngt_f32_e32 vcc, s10, v15
	v_cndmask_b32_e32 v15, v13, v22, vcc
	v_cmp_ngt_f32_e32 vcc, s10, v16
	v_cndmask_b32_e32 v16, v13, v21, vcc
	v_cmp_ngt_f32_e32 vcc, s10, v17
	v_cndmask_b32_e32 v17, v13, v20, vcc
	v_cvt_i32_f32_sdwa v17, v17 dst_sel:BYTE_1 dst_unused:UNUSED_PAD src0_sel:DWORD
	v_cvt_i32_f32_e32 v16, v16
	v_cvt_i32_f32_sdwa v15, v15 dst_sel:BYTE_1 dst_unused:UNUSED_PAD src0_sel:DWORD
	v_cvt_i32_f32_e32 v9, v9
	v_cmp_eq_u32_e32 vcc, 0, v14
	v_or_b32_sdwa v16, v16, v17 dst_sel:DWORD dst_unused:UNUSED_PAD src0_sel:BYTE_0 src1_sel:DWORD
	s_or_b64 s[4:5], vcc, s[4:5]
	v_or_b32_sdwa v9, v9, v15 dst_sel:WORD_1 dst_unused:UNUSED_PAD src0_sel:BYTE_0 src1_sel:DWORD
	v_or_b32_sdwa v9, v16, v9 dst_sel:DWORD dst_unused:UNUSED_PAD src0_sel:WORD_0 src1_sel:DWORD
	global_store_dword v[18:19], v9, off
	s_andn2_b64 exec, exec, s[4:5]
	s_cbranch_execnz .LBB10_41
; %bb.42:
	s_or_b64 exec, exec, s[4:5]
	v_cmp_ne_u32_e32 vcc, v1, v3
	v_add_u32_e32 v2, v2, v3
	s_orn2_b64 s[4:5], vcc, exec
.LBB10_43:
	s_or_b64 exec, exec, s[0:1]
	s_and_b64 exec, exec, s[4:5]
	s_cbranch_execz .LBB10_46
; %bb.44:
	s_lshl_b64 s[0:1], s[40:41], 1
	s_add_u32 s0, s34, s0
	s_addc_u32 s1, s35, s1
	v_ashrrev_i32_e32 v3, 31, v2
	s_add_u32 s0, s30, s0
	v_lshlrev_b64 v[4:5], 1, v[2:3]
	s_addc_u32 s1, s31, s1
	s_mov_b32 s10, 0
	v_mov_b32_e32 v1, s1
	v_add_co_u32_e32 v4, vcc, s0, v4
	v_addc_co_u32_e32 v5, vcc, v1, v5, vcc
	s_lshl_b32 s8, s33, 1
	s_mov_b64 s[4:5], 0
	v_mov_b32_e32 v1, s7
	s_mov_b32 s7, 0x42fe0000
	v_mov_b32_e32 v7, 0x42fe0000
	s_mov_b32 s9, 0xc3000000
	v_mov_b32_e32 v8, 0xc3000000
	v_mov_b32_e32 v9, s10
	;; [unrolled: 1-line block ×3, first 2 shown]
.LBB10_45:                              ; =>This Inner Loop Header: Depth=1
	global_load_ushort v11, v[4:5], off
	v_add_co_u32_e32 v12, vcc, s6, v2
	v_addc_co_u32_e32 v13, vcc, v1, v3, vcc
	v_add_co_u32_e32 v2, vcc, s33, v2
	v_addc_co_u32_e32 v3, vcc, v3, v9, vcc
	;; [unrolled: 2-line block ×3, first 2 shown]
	v_cmp_le_i32_e32 vcc, s51, v2
	s_or_b64 s[4:5], vcc, s[4:5]
	s_waitcnt vmcnt(0)
	v_lshlrev_b32_e32 v11, 16, v11
	v_mul_f32_e32 v11, v6, v11
	v_rndne_f32_e32 v11, v11
	v_cmp_nlt_f32_e64 s[0:1], s7, v11
	v_cndmask_b32_e64 v14, v7, v11, s[0:1]
	v_cmp_ngt_f32_e64 s[0:1], s9, v11
	v_cndmask_b32_e64 v11, v8, v14, s[0:1]
	v_cvt_i32_f32_e32 v11, v11
	global_store_byte v[12:13], v11, off
	s_andn2_b64 exec, exec, s[4:5]
	s_cbranch_execnz .LBB10_45
.LBB10_46:
	s_or_b64 exec, exec, s[2:3]
	s_mov_b64 s[0:1], 0
.LBB10_47:
	s_and_b64 vcc, exec, s[0:1]
	s_cbranch_vccz .LBB10_51
; %bb.48:
	s_ashr_i32 s40, s48, 4
	v_cmp_gt_i32_e32 vcc, s40, v0
	s_and_saveexec_b64 s[0:1], vcc
	s_cbranch_execz .LBB10_51
; %bb.49:
	s_add_u32 s1, s38, s36
	v_lshlrev_b32_e32 v1, 4, v0
	s_addc_u32 s2, s39, s37
	v_mov_b32_e32 v2, s2
	v_add_co_u32_e32 v1, vcc, s1, v1
	v_addc_co_u32_e32 v2, vcc, 0, v2, vcc
	s_lshl_b32 s36, s33, 4
	v_add_co_u32_e32 v8, vcc, 8, v1
	s_add_u32 s1, s30, s34
	v_addc_co_u32_e32 v9, vcc, 0, v2, vcc
	v_lshlrev_b32_e32 v1, 5, v0
	s_addc_u32 s2, s31, s35
	v_mov_b32_e32 v2, s2
	v_add_co_u32_e32 v1, vcc, s1, v1
	v_addc_co_u32_e32 v2, vcc, 0, v2, vcc
	s_mov_b32 s0, 0
	v_add_co_u32_e32 v10, vcc, 16, v1
	v_mov_b32_e32 v7, v6
	v_addc_co_u32_e32 v11, vcc, 0, v2, vcc
	s_lshl_b32 s34, s33, 5
	s_mov_b64 s[30:31], 0
	v_mov_b32_e32 v12, v6
	v_mov_b32_e32 v13, v6
	s_mov_b32 s35, 0x42fe0000
	v_mov_b32_e32 v1, 0x42fe0000
	s_mov_b32 s37, 0xc3000000
	v_mov_b32_e32 v14, 0xc3000000
	v_mov_b32_e32 v15, s0
	v_mov_b32_e32 v16, s0
.LBB10_50:                              ; =>This Inner Loop Header: Depth=1
	global_load_dwordx4 v[2:5], v[10:11], off offset:-16
	global_load_dwordx4 v[18:21], v[10:11], off
	v_add_co_u32_e32 v10, vcc, s34, v10
	v_add_u32_e32 v0, s33, v0
	v_addc_co_u32_e32 v11, vcc, v11, v16, vcc
	v_cmp_le_i32_e32 vcc, s40, v0
	s_or_b64 s[30:31], vcc, s[30:31]
	s_waitcnt vmcnt(1)
	v_and_b32_e32 v29, 0xffff0000, v4
	v_lshlrev_b32_e32 v28, 16, v4
	v_and_b32_e32 v23, 0xffff0000, v2
	v_and_b32_e32 v25, 0xffff0000, v3
	;; [unrolled: 1-line block ×3, first 2 shown]
	v_lshlrev_b32_e32 v22, 16, v2
	v_lshlrev_b32_e32 v24, 16, v3
	v_lshlrev_b32_e32 v26, 16, v5
	s_waitcnt vmcnt(0)
	v_and_b32_e32 v3, 0xffff0000, v18
	v_and_b32_e32 v5, 0xffff0000, v19
	v_lshlrev_b32_e32 v2, 16, v18
	v_lshlrev_b32_e32 v4, 16, v19
	v_pk_mul_f32 v[18:19], v[12:13], v[28:29]
	v_and_b32_e32 v31, 0xffff0000, v21
	v_lshlrev_b32_e32 v30, 16, v21
	v_rndne_f32_e32 v19, v19
	v_and_b32_e32 v33, 0xffff0000, v20
	v_lshlrev_b32_e32 v32, 16, v20
	v_pk_mul_f32 v[20:21], v[12:13], v[26:27]
	v_pk_mul_f32 v[24:25], v[12:13], v[24:25]
	;; [unrolled: 1-line block ×3, first 2 shown]
	v_rndne_f32_e32 v18, v18
	v_cmp_nlt_f32_e32 vcc, s35, v19
	v_pk_mul_f32 v[26:27], v[12:13], v[32:33]
	v_rndne_f32_e32 v17, v24
	v_rndne_f32_e32 v24, v25
	;; [unrolled: 1-line block ×5, first 2 shown]
	v_cndmask_b32_e32 v29, v1, v19, vcc
	v_cmp_nlt_f32_e32 vcc, s35, v18
	v_rndne_f32_e32 v20, v20
	v_rndne_f32_e32 v27, v27
	v_cndmask_b32_e32 v30, v1, v18, vcc
	v_cmp_nlt_f32_e32 vcc, s35, v21
	v_rndne_f32_e32 v26, v26
	v_cndmask_b32_e32 v31, v1, v21, vcc
	v_cmp_nlt_f32_e32 vcc, s35, v20
	v_cmp_nlt_f32_e64 s[12:13], s35, v27
	v_pk_mul_f32 v[22:23], v[6:7], v[22:23]
	v_cndmask_b32_e32 v32, v1, v20, vcc
	v_cmp_nlt_f32_e32 vcc, s35, v24
	v_cmp_ngt_f32_e64 s[4:5], s37, v18
	v_cndmask_b32_e64 v18, v1, v27, s[12:13]
	v_cmp_nlt_f32_e64 s[12:13], s35, v26
	v_pk_mul_f32 v[4:5], v[12:13], v[4:5]
	v_rndne_f32_e32 v23, v23
	v_cndmask_b32_e32 v33, v1, v24, vcc
	v_cmp_nlt_f32_e32 vcc, s35, v17
	v_cmp_ngt_f32_e64 s[6:7], s37, v19
	v_cndmask_b32_e64 v19, v1, v26, s[12:13]
	v_cmp_nlt_f32_e64 s[12:13], s35, v28
	v_rndne_f32_e32 v22, v22
	v_rndne_f32_e32 v5, v5
	v_cndmask_b32_e32 v34, v1, v17, vcc
	v_cmp_nlt_f32_e32 vcc, s35, v23
	v_cmp_ngt_f32_e64 s[0:1], s37, v20
	v_cndmask_b32_e64 v20, v1, v28, s[12:13]
	v_cmp_nlt_f32_e64 s[12:13], s35, v25
	v_pk_mul_f32 v[2:3], v[6:7], v[2:3]
	v_rndne_f32_e32 v4, v4
	v_cndmask_b32_e32 v35, v1, v23, vcc
	v_cmp_nlt_f32_e32 vcc, s35, v22
	v_cmp_ngt_f32_e64 s[2:3], s37, v21
	v_cndmask_b32_e64 v21, v1, v25, s[12:13]
	v_cmp_nlt_f32_e64 s[12:13], s35, v5
	v_rndne_f32_e32 v3, v3
	v_cndmask_b32_e32 v36, v1, v22, vcc
	v_cmp_ngt_f32_e64 s[8:9], s37, v22
	v_cndmask_b32_e64 v22, v1, v5, s[12:13]
	v_cmp_nlt_f32_e64 s[12:13], s35, v4
	v_rndne_f32_e32 v2, v2
	v_cmp_ngt_f32_e64 s[10:11], s37, v23
	v_cndmask_b32_e64 v23, v1, v4, s[12:13]
	v_cmp_nlt_f32_e64 s[12:13], s35, v3
	v_cmp_ngt_f32_e32 vcc, s37, v24
	v_cndmask_b32_e64 v24, v1, v3, s[12:13]
	v_cmp_nlt_f32_e64 s[12:13], s35, v2
	v_cndmask_b32_e64 v37, v1, v2, s[12:13]
	v_cmp_ngt_f32_e64 s[12:13], s37, v4
	v_cmp_ngt_f32_e64 s[14:15], s37, v5
	;; [unrolled: 1-line block ×9, first 2 shown]
	v_cndmask_b32_e64 v2, v14, v34, s[28:29]
	v_cndmask_b32_e32 v3, v14, v33, vcc
	v_cndmask_b32_e64 v4, v14, v32, s[0:1]
	v_cndmask_b32_e64 v5, v14, v31, s[2:3]
	;; [unrolled: 1-line block ×14, first 2 shown]
	v_cvt_i32_f32_sdwa v25, v25 dst_sel:BYTE_1 dst_unused:UNUSED_PAD src0_sel:DWORD
	v_cvt_i32_f32_e32 v17, v17
	v_cvt_i32_f32_sdwa v5, v5 dst_sel:BYTE_1 dst_unused:UNUSED_PAD src0_sel:DWORD
	v_cvt_i32_f32_e32 v4, v4
	;; [unrolled: 2-line block ×8, first 2 shown]
	v_or_b32_sdwa v17, v17, v25 dst_sel:DWORD dst_unused:UNUSED_PAD src0_sel:BYTE_0 src1_sel:DWORD
	v_or_b32_sdwa v4, v4, v5 dst_sel:WORD_1 dst_unused:UNUSED_PAD src0_sel:BYTE_0 src1_sel:DWORD
	v_or_b32_sdwa v2, v2, v3 dst_sel:WORD_1 dst_unused:UNUSED_PAD src0_sel:BYTE_0 src1_sel:DWORD
	v_or_b32_sdwa v5, v26, v27 dst_sel:DWORD dst_unused:UNUSED_PAD src0_sel:BYTE_0 src1_sel:DWORD
	v_or_b32_sdwa v18, v19, v18 dst_sel:DWORD dst_unused:UNUSED_PAD src0_sel:BYTE_0 src1_sel:DWORD
	v_or_b32_sdwa v19, v21, v20 dst_sel:WORD_1 dst_unused:UNUSED_PAD src0_sel:BYTE_0 src1_sel:DWORD
	v_or_b32_sdwa v20, v23, v22 dst_sel:WORD_1 dst_unused:UNUSED_PAD src0_sel:BYTE_0 src1_sel:DWORD
	v_or_b32_sdwa v21, v28, v24 dst_sel:DWORD dst_unused:UNUSED_PAD src0_sel:BYTE_0 src1_sel:DWORD
	v_or_b32_sdwa v3, v17, v4 dst_sel:DWORD dst_unused:UNUSED_PAD src0_sel:WORD_0 src1_sel:DWORD
	v_or_b32_sdwa v2, v5, v2 dst_sel:DWORD dst_unused:UNUSED_PAD src0_sel:WORD_0 src1_sel:DWORD
	;; [unrolled: 1-line block ×4, first 2 shown]
	global_store_dwordx4 v[8:9], v[2:5], off offset:-8
	v_add_co_u32_e32 v8, vcc, s36, v8
	v_addc_co_u32_e32 v9, vcc, v9, v15, vcc
	s_andn2_b64 exec, exec, s[30:31]
	s_cbranch_execnz .LBB10_50
.LBB10_51:
	s_endpgm
	.section	.rodata,"a",@progbits
	.p2align	6, 0x0
	.amdhsa_kernel _ZN4vllm32dynamic_scaled_int8_quant_kernelIN3c108BFloat16EfEEvPKT_PaPT0_i
		.amdhsa_group_segment_fixed_size 20
		.amdhsa_private_segment_fixed_size 0
		.amdhsa_kernarg_size 288
		.amdhsa_user_sgpr_count 6
		.amdhsa_user_sgpr_private_segment_buffer 1
		.amdhsa_user_sgpr_dispatch_ptr 0
		.amdhsa_user_sgpr_queue_ptr 0
		.amdhsa_user_sgpr_kernarg_segment_ptr 1
		.amdhsa_user_sgpr_dispatch_id 0
		.amdhsa_user_sgpr_flat_scratch_init 0
		.amdhsa_user_sgpr_kernarg_preload_length 0
		.amdhsa_user_sgpr_kernarg_preload_offset 0
		.amdhsa_user_sgpr_private_segment_size 0
		.amdhsa_uses_dynamic_stack 0
		.amdhsa_system_sgpr_private_segment_wavefront_offset 0
		.amdhsa_system_sgpr_workgroup_id_x 1
		.amdhsa_system_sgpr_workgroup_id_y 0
		.amdhsa_system_sgpr_workgroup_id_z 0
		.amdhsa_system_sgpr_workgroup_info 0
		.amdhsa_system_vgpr_workitem_id 0
		.amdhsa_next_free_vgpr 40
		.amdhsa_next_free_sgpr 57
		.amdhsa_accum_offset 40
		.amdhsa_reserve_vcc 1
		.amdhsa_reserve_flat_scratch 0
		.amdhsa_float_round_mode_32 0
		.amdhsa_float_round_mode_16_64 0
		.amdhsa_float_denorm_mode_32 3
		.amdhsa_float_denorm_mode_16_64 3
		.amdhsa_dx10_clamp 1
		.amdhsa_ieee_mode 1
		.amdhsa_fp16_overflow 0
		.amdhsa_tg_split 0
		.amdhsa_exception_fp_ieee_invalid_op 0
		.amdhsa_exception_fp_denorm_src 0
		.amdhsa_exception_fp_ieee_div_zero 0
		.amdhsa_exception_fp_ieee_overflow 0
		.amdhsa_exception_fp_ieee_underflow 0
		.amdhsa_exception_fp_ieee_inexact 0
		.amdhsa_exception_int_div_zero 0
	.end_amdhsa_kernel
	.section	.text._ZN4vllm32dynamic_scaled_int8_quant_kernelIN3c108BFloat16EfEEvPKT_PaPT0_i,"axG",@progbits,_ZN4vllm32dynamic_scaled_int8_quant_kernelIN3c108BFloat16EfEEvPKT_PaPT0_i,comdat
.Lfunc_end10:
	.size	_ZN4vllm32dynamic_scaled_int8_quant_kernelIN3c108BFloat16EfEEvPKT_PaPT0_i, .Lfunc_end10-_ZN4vllm32dynamic_scaled_int8_quant_kernelIN3c108BFloat16EfEEvPKT_PaPT0_i
                                        ; -- End function
	.section	.AMDGPU.csdata,"",@progbits
; Kernel info:
; codeLenInByte = 5660
; NumSgprs: 61
; NumVgprs: 40
; NumAgprs: 0
; TotalNumVgprs: 40
; ScratchSize: 0
; MemoryBound: 0
; FloatMode: 240
; IeeeMode: 1
; LDSByteSize: 20 bytes/workgroup (compile time only)
; SGPRBlocks: 7
; VGPRBlocks: 4
; NumSGPRsForWavesPerEU: 61
; NumVGPRsForWavesPerEU: 40
; AccumOffset: 40
; Occupancy: 8
; WaveLimiterHint : 0
; COMPUTE_PGM_RSRC2:SCRATCH_EN: 0
; COMPUTE_PGM_RSRC2:USER_SGPR: 6
; COMPUTE_PGM_RSRC2:TRAP_HANDLER: 0
; COMPUTE_PGM_RSRC2:TGID_X_EN: 1
; COMPUTE_PGM_RSRC2:TGID_Y_EN: 0
; COMPUTE_PGM_RSRC2:TGID_Z_EN: 0
; COMPUTE_PGM_RSRC2:TIDIG_COMP_CNT: 0
; COMPUTE_PGM_RSRC3_GFX90A:ACCUM_OFFSET: 9
; COMPUTE_PGM_RSRC3_GFX90A:TG_SPLIT: 0
	.section	.text._ZN4vllm36dynamic_scaled_int8_azp_quant_kernelIN3c108BFloat16EfiEEvPKT_PaPT0_PT1_i,"axG",@progbits,_ZN4vllm36dynamic_scaled_int8_azp_quant_kernelIN3c108BFloat16EfiEEvPKT_PaPT0_PT1_i,comdat
	.protected	_ZN4vllm36dynamic_scaled_int8_azp_quant_kernelIN3c108BFloat16EfiEEvPKT_PaPT0_PT1_i ; -- Begin function _ZN4vllm36dynamic_scaled_int8_azp_quant_kernelIN3c108BFloat16EfiEEvPKT_PaPT0_PT1_i
	.globl	_ZN4vllm36dynamic_scaled_int8_azp_quant_kernelIN3c108BFloat16EfiEEvPKT_PaPT0_PT1_i
	.p2align	8
	.type	_ZN4vllm36dynamic_scaled_int8_azp_quant_kernelIN3c108BFloat16EfiEEvPKT_PaPT0_PT1_i,@function
_ZN4vllm36dynamic_scaled_int8_azp_quant_kernelIN3c108BFloat16EfiEEvPKT_PaPT0_PT1_i: ; @_ZN4vllm36dynamic_scaled_int8_azp_quant_kernelIN3c108BFloat16EfiEEvPKT_PaPT0_PT1_i
; %bb.0:
	s_load_dword s31, s[4:5], 0x20
	s_load_dword s0, s[4:5], 0x34
	s_load_dwordx2 s[8:9], s[4:5], 0x0
	s_mov_b32 s7, 0
	s_waitcnt lgkmcnt(0)
	s_ashr_i32 s1, s31, 31
	s_and_b32 s28, s0, 0xffff
	s_mul_hi_u32 s0, s31, s6
	s_mul_i32 s1, s1, s6
	s_add_i32 s13, s0, s1
	s_mul_i32 s12, s31, s6
	s_lshl_b64 s[10:11], s[12:13], 1
	s_add_u32 s29, s8, s10
	s_addc_u32 s30, s9, s11
	s_and_b32 s0, s29, 31
	s_mov_b32 s1, s7
	s_cmp_lg_u64 s[0:1], 0
	s_cselect_b64 s[0:1], -1, 0
	s_and_b32 s2, s31, 15
	s_cmp_lg_u32 s2, 0
	s_cselect_b64 s[2:3], -1, 0
	s_or_b64 s[0:1], s[2:3], s[0:1]
	s_and_b64 vcc, exec, s[0:1]
	s_cbranch_vccz .LBB11_14
; %bb.1:
	s_sub_i32 s2, 0, s29
	s_bfe_u32 s2, s2, 0x40001
	s_min_i32 s2, s2, s31
	v_cmp_gt_i32_e32 vcc, s2, v0
	v_mov_b32_e32 v3, 0xff7fffff
	v_mov_b32_e32 v2, 0x7f7fffff
	s_and_saveexec_b64 s[14:15], vcc
	s_cbranch_execz .LBB11_5
; %bb.2:
	s_add_u32 s3, s8, s10
	v_lshlrev_b32_e32 v1, 1, v0
	s_addc_u32 s16, s9, s11
	s_mov_b32 s18, 0
	v_mov_b32_e32 v2, s16
	v_add_co_u32_e32 v4, vcc, s3, v1
	v_addc_co_u32_e32 v5, vcc, 0, v2, vcc
	s_lshl_b32 s3, s28, 1
	s_mov_b64 s[16:17], 0
	v_mov_b32_e32 v3, 0xff7fffff
	v_mov_b32_e32 v2, 0x7f7fffff
	;; [unrolled: 1-line block ×4, first 2 shown]
.LBB11_3:                               ; =>This Inner Loop Header: Depth=1
	global_load_ushort v7, v[4:5], off
	v_add_co_u32_e32 v4, vcc, s3, v4
	v_add_u32_e32 v6, s28, v6
	v_addc_co_u32_e32 v5, vcc, v5, v1, vcc
	v_max_f32_e32 v2, v2, v2
	v_max_f32_e32 v3, v3, v3
	v_cmp_le_i32_e32 vcc, s2, v6
	s_or_b64 s[16:17], vcc, s[16:17]
	s_waitcnt vmcnt(0)
	v_lshlrev_b32_e32 v7, 16, v7
	v_max_f32_e32 v7, v7, v7
	v_min_f32_e32 v2, v2, v7
	v_max_f32_e32 v3, v3, v7
	s_andn2_b64 exec, exec, s[16:17]
	s_cbranch_execnz .LBB11_3
; %bb.4:
	s_or_b64 exec, exec, s[16:17]
.LBB11_5:
	s_or_b64 exec, exec, s[14:15]
	s_sub_i32 s18, s31, s2
	s_ashr_i32 s14, s18, 31
	s_lshr_b32 s14, s14, 28
	s_add_i32 s14, s18, s14
	s_ashr_i32 s19, s14, 4
	s_ashr_i32 s3, s2, 31
	v_cmp_gt_i32_e32 vcc, s19, v0
	s_and_saveexec_b64 s[14:15], vcc
	s_cbranch_execz .LBB11_9
; %bb.6:
	s_lshl_b64 s[16:17], s[2:3], 1
	s_add_u32 s16, s8, s16
	s_addc_u32 s17, s9, s17
	s_add_u32 s16, s16, s10
	v_lshlrev_b32_e32 v1, 5, v0
	s_addc_u32 s17, s17, s11
	s_mov_b32 s21, 0
	v_mov_b32_e32 v5, s17
	v_add_co_u32_e32 v4, vcc, s16, v1
	v_addc_co_u32_e32 v5, vcc, 0, v5, vcc
	s_lshl_b32 s20, s28, 5
	s_mov_b64 s[16:17], 0
	v_mov_b32_e32 v1, s21
	v_mov_b32_e32 v6, v0
.LBB11_7:                               ; =>This Inner Loop Header: Depth=1
	global_load_dwordx4 v[8:11], v[4:5], off
	global_load_dwordx4 v[12:15], v[4:5], off offset:16
	v_add_co_u32_e32 v4, vcc, s20, v4
	v_add_u32_e32 v6, s28, v6
	v_addc_co_u32_e32 v5, vcc, v5, v1, vcc
	v_cmp_le_i32_e32 vcc, s19, v6
	s_or_b64 s[16:17], vcc, s[16:17]
	s_waitcnt vmcnt(1)
	v_lshlrev_b32_e32 v7, 16, v8
	v_and_b32_e32 v8, 0xffff0000, v8
	v_lshlrev_b32_e32 v16, 16, v9
	v_and_b32_e32 v9, 0xffff0000, v9
	v_min3_f32 v2, v2, v7, v8
	v_max3_f32 v3, v3, v7, v8
	v_lshlrev_b32_e32 v17, 16, v10
	v_and_b32_e32 v10, 0xffff0000, v10
	v_min3_f32 v2, v2, v16, v9
	v_max3_f32 v3, v3, v16, v9
	;; [unrolled: 4-line block ×3, first 2 shown]
	s_waitcnt vmcnt(0)
	v_lshlrev_b32_e32 v19, 16, v12
	v_and_b32_e32 v12, 0xffff0000, v12
	v_min3_f32 v2, v2, v18, v11
	v_max3_f32 v3, v3, v18, v11
	v_lshlrev_b32_e32 v20, 16, v13
	v_and_b32_e32 v13, 0xffff0000, v13
	v_min3_f32 v2, v2, v19, v12
	v_max3_f32 v3, v3, v19, v12
	;; [unrolled: 4-line block ×4, first 2 shown]
	v_min3_f32 v2, v2, v22, v15
	v_max3_f32 v3, v3, v22, v15
	s_andn2_b64 exec, exec, s[16:17]
	s_cbranch_execnz .LBB11_7
; %bb.8:
	s_or_b64 exec, exec, s[16:17]
.LBB11_9:
	s_or_b64 exec, exec, s[14:15]
	v_lshl_add_u32 v4, s19, 4, v0
	v_cmp_gt_i32_e32 vcc, s18, v4
	s_and_saveexec_b64 s[14:15], vcc
	s_cbranch_execz .LBB11_13
; %bb.10:
	s_lshl_b64 s[2:3], s[2:3], 1
	s_add_u32 s2, s10, s2
	s_addc_u32 s3, s11, s3
	v_ashrrev_i32_e32 v5, 31, v4
	s_add_u32 s2, s8, s2
	v_lshlrev_b64 v[6:7], 1, v[4:5]
	s_addc_u32 s3, s9, s3
	v_mov_b32_e32 v1, s3
	v_add_co_u32_e32 v6, vcc, s2, v6
	s_mov_b32 s17, 0
	v_addc_co_u32_e32 v7, vcc, v1, v7, vcc
	s_lshl_b32 s16, s28, 1
	s_mov_b64 s[2:3], 0
	v_mov_b32_e32 v1, s17
.LBB11_11:                              ; =>This Inner Loop Header: Depth=1
	global_load_ushort v5, v[6:7], off
	v_add_co_u32_e32 v6, vcc, s16, v6
	v_add_u32_e32 v4, s28, v4
	v_addc_co_u32_e32 v7, vcc, v7, v1, vcc
	v_max_f32_e32 v2, v2, v2
	v_max_f32_e32 v3, v3, v3
	v_cmp_le_i32_e32 vcc, s18, v4
	s_or_b64 s[2:3], vcc, s[2:3]
	s_waitcnt vmcnt(0)
	v_lshlrev_b32_e32 v5, 16, v5
	v_max_f32_e32 v5, v5, v5
	v_min_f32_e32 v2, v2, v5
	v_max_f32_e32 v3, v3, v5
	s_andn2_b64 exec, exec, s[2:3]
	s_cbranch_execnz .LBB11_11
; %bb.12:
	s_or_b64 exec, exec, s[2:3]
.LBB11_13:
	s_or_b64 exec, exec, s[14:15]
	s_branch .LBB11_20
.LBB11_14:
                                        ; implicit-def: $vgpr3
	s_cbranch_execz .LBB11_20
; %bb.15:
	s_ashr_i32 s16, s31, 4
	v_cmp_gt_i32_e32 vcc, s16, v0
	v_mov_b32_e32 v3, 0xff7fffff
	v_mov_b32_e32 v2, 0x7f7fffff
	s_and_saveexec_b64 s[2:3], vcc
	s_cbranch_execz .LBB11_19
; %bb.16:
	s_add_u32 s14, s8, s10
	v_lshlrev_b32_e32 v1, 5, v0
	s_addc_u32 s15, s9, s11
	s_mov_b32 s18, 0
	v_mov_b32_e32 v2, s15
	v_add_co_u32_e32 v4, vcc, s14, v1
	v_addc_co_u32_e32 v5, vcc, 0, v2, vcc
	s_lshl_b32 s17, s28, 5
	s_mov_b64 s[14:15], 0
	v_mov_b32_e32 v3, 0xff7fffff
	v_mov_b32_e32 v2, 0x7f7fffff
	;; [unrolled: 1-line block ×4, first 2 shown]
.LBB11_17:                              ; =>This Inner Loop Header: Depth=1
	global_load_dwordx4 v[8:11], v[4:5], off
	global_load_dwordx4 v[12:15], v[4:5], off offset:16
	v_add_co_u32_e32 v4, vcc, s17, v4
	v_add_u32_e32 v6, s28, v6
	v_addc_co_u32_e32 v5, vcc, v5, v1, vcc
	v_cmp_le_i32_e32 vcc, s16, v6
	s_or_b64 s[14:15], vcc, s[14:15]
	s_waitcnt vmcnt(1)
	v_lshlrev_b32_e32 v7, 16, v8
	v_and_b32_e32 v8, 0xffff0000, v8
	v_lshlrev_b32_e32 v16, 16, v9
	v_and_b32_e32 v9, 0xffff0000, v9
	v_min3_f32 v2, v2, v7, v8
	v_max3_f32 v3, v3, v7, v8
	v_lshlrev_b32_e32 v17, 16, v10
	v_and_b32_e32 v10, 0xffff0000, v10
	v_min3_f32 v2, v2, v16, v9
	v_max3_f32 v3, v3, v16, v9
	;; [unrolled: 4-line block ×3, first 2 shown]
	s_waitcnt vmcnt(0)
	v_lshlrev_b32_e32 v19, 16, v12
	v_and_b32_e32 v12, 0xffff0000, v12
	v_min3_f32 v2, v2, v18, v11
	v_max3_f32 v3, v3, v18, v11
	v_lshlrev_b32_e32 v20, 16, v13
	v_and_b32_e32 v13, 0xffff0000, v13
	v_min3_f32 v2, v2, v19, v12
	v_max3_f32 v3, v3, v19, v12
	v_lshlrev_b32_e32 v21, 16, v14
	v_and_b32_e32 v14, 0xffff0000, v14
	v_min3_f32 v2, v2, v20, v13
	v_max3_f32 v3, v3, v20, v13
	v_lshlrev_b32_e32 v22, 16, v15
	v_and_b32_e32 v15, 0xffff0000, v15
	v_min3_f32 v2, v2, v21, v14
	v_max3_f32 v3, v3, v21, v14
	v_min3_f32 v2, v2, v22, v15
	v_max3_f32 v3, v3, v22, v15
	s_andn2_b64 exec, exec, s[14:15]
	s_cbranch_execnz .LBB11_17
; %bb.18:
	s_or_b64 exec, exec, s[14:15]
.LBB11_19:
	s_or_b64 exec, exec, s[2:3]
.LBB11_20:
	v_mbcnt_lo_u32_b32 v1, -1, 0
	v_mbcnt_hi_u32_b32 v1, -1, v1
	v_and_b32_e32 v4, 63, v1
	v_cmp_ne_u32_e32 vcc, 63, v4
	v_addc_co_u32_e32 v5, vcc, 0, v1, vcc
	v_lshlrev_b32_e32 v5, 2, v5
	ds_bpermute_b32 v7, v5, v2
	ds_bpermute_b32 v6, v5, v3
	v_and_b32_e32 v5, 0x3c0, v0
	v_sub_u32_e64 v5, s28, v5 clamp
	v_add_u32_e32 v8, 1, v1
	v_cmp_lt_u32_e32 vcc, v8, v5
	s_and_saveexec_b64 s[2:3], vcc
	s_cbranch_execz .LBB11_22
; %bb.21:
	s_waitcnt lgkmcnt(1)
	v_max_f32_e32 v7, v7, v7
	v_max_f32_e32 v2, v2, v2
	s_waitcnt lgkmcnt(0)
	v_max_f32_e32 v6, v6, v6
	v_max_f32_e32 v3, v3, v3
	v_min_f32_e32 v2, v2, v7
	v_max_f32_e32 v3, v3, v6
.LBB11_22:
	s_or_b64 exec, exec, s[2:3]
	v_cmp_gt_u32_e32 vcc, 62, v4
	s_waitcnt lgkmcnt(0)
	v_cndmask_b32_e64 v6, 0, 1, vcc
	v_lshlrev_b32_e32 v6, 1, v6
	v_add_lshl_u32 v6, v6, v1, 2
	ds_bpermute_b32 v7, v6, v2
	ds_bpermute_b32 v6, v6, v3
	v_add_u32_e32 v8, 2, v1
	v_cmp_lt_u32_e32 vcc, v8, v5
	s_and_saveexec_b64 s[2:3], vcc
	s_cbranch_execz .LBB11_24
; %bb.23:
	s_waitcnt lgkmcnt(1)
	v_max_f32_e32 v7, v7, v7
	v_max_f32_e32 v2, v2, v2
	s_waitcnt lgkmcnt(0)
	v_max_f32_e32 v6, v6, v6
	v_max_f32_e32 v3, v3, v3
	v_min_f32_e32 v2, v2, v7
	v_max_f32_e32 v3, v3, v6
.LBB11_24:
	s_or_b64 exec, exec, s[2:3]
	v_cmp_gt_u32_e32 vcc, 60, v4
	s_waitcnt lgkmcnt(0)
	v_cndmask_b32_e64 v6, 0, 1, vcc
	v_lshlrev_b32_e32 v6, 2, v6
	v_add_lshl_u32 v6, v6, v1, 2
	ds_bpermute_b32 v7, v6, v2
	ds_bpermute_b32 v6, v6, v3
	;; [unrolled: 22-line block ×4, first 2 shown]
	v_add_u32_e32 v8, 16, v1
	v_cmp_lt_u32_e32 vcc, v8, v5
	s_and_saveexec_b64 s[2:3], vcc
	s_cbranch_execz .LBB11_30
; %bb.29:
	s_waitcnt lgkmcnt(1)
	v_max_f32_e32 v7, v7, v7
	v_max_f32_e32 v2, v2, v2
	s_waitcnt lgkmcnt(0)
	v_max_f32_e32 v6, v6, v6
	v_max_f32_e32 v3, v3, v3
	v_min_f32_e32 v2, v2, v7
	v_max_f32_e32 v3, v3, v6
.LBB11_30:
	s_or_b64 exec, exec, s[2:3]
	v_cmp_gt_u32_e32 vcc, 32, v4
	v_cndmask_b32_e64 v4, 0, 1, vcc
	v_lshlrev_b32_e32 v4, 5, v4
	v_add_lshl_u32 v4, v4, v1, 2
	s_waitcnt lgkmcnt(0)
	ds_bpermute_b32 v6, v4, v2
	ds_bpermute_b32 v4, v4, v3
	v_add_u32_e32 v7, 32, v1
	v_cmp_lt_u32_e32 vcc, v7, v5
	s_and_saveexec_b64 s[2:3], vcc
	s_cbranch_execz .LBB11_32
; %bb.31:
	s_waitcnt lgkmcnt(1)
	v_max_f32_e32 v5, v6, v6
	v_max_f32_e32 v2, v2, v2
	s_waitcnt lgkmcnt(0)
	v_max_f32_e32 v4, v4, v4
	v_max_f32_e32 v3, v3, v3
	v_min_f32_e32 v2, v2, v5
	v_max_f32_e32 v3, v3, v4
.LBB11_32:
	s_or_b64 exec, exec, s[2:3]
	v_cmp_eq_u32_e32 vcc, 0, v1
	s_and_saveexec_b64 s[2:3], vcc
	s_cbranch_execz .LBB11_34
; %bb.33:
	s_waitcnt lgkmcnt(0)
	v_lshrrev_b32_e32 v4, 3, v0
	v_and_b32_e32 v4, 0x78, v4
	ds_write2_b32 v4, v2, v3 offset1:1
.LBB11_34:
	s_or_b64 exec, exec, s[2:3]
	s_load_dwordx2 s[14:15], s[4:5], 0x8
	v_cmp_gt_u32_e32 vcc, 4, v0
	s_waitcnt lgkmcnt(0)
	s_barrier
	s_and_saveexec_b64 s[2:3], vcc
	s_cbranch_execz .LBB11_42
; %bb.35:
	v_lshlrev_b32_e32 v2, 3, v1
	ds_read2_b32 v[2:3], v2 offset1:1
	v_and_b32_e32 v4, 3, v1
	v_cmp_ne_u32_e32 vcc, 3, v4
	v_addc_co_u32_e32 v5, vcc, 0, v1, vcc
	v_lshlrev_b32_e32 v6, 2, v5
	s_waitcnt lgkmcnt(0)
	ds_bpermute_b32 v5, v6, v2
	ds_bpermute_b32 v6, v6, v3
	s_add_i32 s16, s28, 63
	s_lshr_b32 s18, s16, 6
	v_add_u32_e32 v7, 1, v4
	v_cmp_le_u32_e32 vcc, s18, v7
	s_and_saveexec_b64 s[16:17], vcc
	s_xor_b64 s[16:17], exec, s[16:17]
; %bb.36:
                                        ; implicit-def: $vgpr5
                                        ; implicit-def: $vgpr6
; %bb.37:
	s_andn2_saveexec_b64 s[16:17], s[16:17]
	s_cbranch_execz .LBB11_39
; %bb.38:
	s_waitcnt lgkmcnt(1)
	v_max_f32_e32 v5, v5, v5
	v_max_f32_e32 v2, v2, v2
	v_min_f32_e32 v2, v2, v5
	s_waitcnt lgkmcnt(0)
	v_max_f32_e32 v5, v6, v6
	v_max_f32_e32 v3, v3, v3
	;; [unrolled: 1-line block ×3, first 2 shown]
.LBB11_39:
	s_or_b64 exec, exec, s[16:17]
	v_cmp_gt_u32_e32 vcc, 2, v4
	s_waitcnt lgkmcnt(1)
	v_cndmask_b32_e64 v5, 0, 1, vcc
	v_lshlrev_b32_e32 v5, 1, v5
	v_add_lshl_u32 v1, v5, v1, 2
	ds_bpermute_b32 v5, v1, v2
	ds_bpermute_b32 v1, v1, v3
	v_add_u32_e32 v4, 2, v4
	v_cmp_gt_u32_e32 vcc, s18, v4
	s_and_saveexec_b64 s[16:17], vcc
	s_cbranch_execz .LBB11_41
; %bb.40:
	s_waitcnt lgkmcnt(1)
	v_max_f32_e32 v4, v5, v5
	v_max_f32_e32 v2, v2, v2
	s_waitcnt lgkmcnt(0)
	v_max_f32_e32 v1, v1, v1
	v_max_f32_e32 v3, v3, v3
	v_min_f32_e32 v2, v2, v4
	v_max_f32_e32 v3, v3, v1
.LBB11_41:
	s_or_b64 exec, exec, s[16:17]
.LBB11_42:
	s_or_b64 exec, exec, s[2:3]
	v_cmp_eq_u32_e32 vcc, 0, v0
	s_and_saveexec_b64 s[2:3], vcc
	s_cbranch_execz .LBB11_44
; %bb.43:
	s_waitcnt lgkmcnt(0)
	v_sub_f32_e32 v1, v3, v2
	s_mov_b32 s18, 0x437f0000
	v_div_scale_f32 v3, s[16:17], s18, s18, v1
	v_rcp_f32_e32 v4, v3
	v_fma_f32 v5, -v3, v4, 1.0
	v_fmac_f32_e32 v4, v5, v4
	v_div_scale_f32 v5, vcc, v1, s18, v1
	v_mul_f32_e32 v6, v5, v4
	v_fma_f32 v7, -v3, v6, v5
	v_fmac_f32_e32 v6, v7, v4
	v_fma_f32 v3, -v3, v6, v5
	v_div_fmas_f32 v3, v3, v4, v6
	v_div_fixup_f32 v3, v3, s18, v1
	v_div_scale_f32 v1, s[16:17], v3, v3, v2
	v_rcp_f32_e32 v4, v1
	s_load_dwordx4 s[16:19], s[4:5], 0x10
	s_lshl_b64 s[4:5], s[6:7], 2
	v_fma_f32 v5, -v1, v4, 1.0
	v_fmac_f32_e32 v4, v5, v4
	v_div_scale_f32 v5, vcc, v2, v3, v2
	v_mul_f32_e32 v6, v5, v4
	v_fma_f32 v7, -v1, v6, v5
	v_fmac_f32_e32 v6, v7, v4
	v_fma_f32 v1, -v1, v6, v5
	v_div_fmas_f32 v1, v1, v4, v6
	v_div_fixup_f32 v1, v1, v3, v2
	v_sub_f32_e32 v1, 0xc3000000, v1
	v_rndne_f32_e32 v1, v1
	v_cvt_i32_f32_e32 v2, v1
	s_waitcnt lgkmcnt(0)
	s_add_u32 s6, s16, s4
	s_addc_u32 s7, s17, s5
	s_add_u32 s4, s18, s4
	v_mov_b32_e32 v1, 0
	s_addc_u32 s5, s19, s5
	ds_write_b64 v1, v[2:3] offset:32
	global_store_dword v1, v3, s[6:7]
	global_store_dword v1, v2, s[4:5]
.LBB11_44:
	s_or_b64 exec, exec, s[2:3]
	s_waitcnt lgkmcnt(0)
	v_mov_b32_e32 v1, 0
	s_barrier
	ds_read_b64 v[38:39], v1 offset:32
	s_add_u32 s16, s14, s12
	s_addc_u32 s17, s15, s13
	s_waitcnt lgkmcnt(0)
	v_div_scale_f32 v1, s[2:3], v39, v39, 1.0
	v_rcp_f32_e32 v2, v1
	s_mov_b64 s[2:3], -1
	v_fma_f32 v3, -v1, v2, 1.0
	v_fmac_f32_e32 v2, v3, v2
	v_div_scale_f32 v3, vcc, 1.0, v39, 1.0
	v_mul_f32_e32 v4, v3, v2
	v_fma_f32 v5, -v1, v4, v3
	v_fmac_f32_e32 v4, v5, v2
	v_fma_f32 v1, -v1, v4, v3
	v_div_fmas_f32 v1, v1, v2, v4
	v_div_fixup_f32 v40, v1, v39, 1.0
	s_and_b64 vcc, exec, s[0:1]
	s_cbranch_vccz .LBB11_142
; %bb.45:
	s_sub_i32 s0, 0, s29
	s_bfe_u32 s0, s0, 0x40001
	s_min_i32 s18, s0, s31
	v_cmp_gt_i32_e32 vcc, s18, v0
	s_and_saveexec_b64 s[2:3], vcc
	s_cbranch_execz .LBB11_57
; %bb.46:
	v_cvt_f32_u32_e32 v1, s28
	v_add_u32_e32 v2, s28, v0
	v_mov_b32_e32 v3, s28
	s_sub_i32 s4, 0, s28
	v_rcp_iflag_f32_e32 v1, v1
	v_cmp_gt_i32_e32 vcc, s18, v2
	v_max_i32_e32 v4, s18, v2
	v_addc_co_u32_e64 v2, s[0:1], v0, v3, vcc
	v_mul_f32_e32 v1, 0x4f7ffffe, v1
	v_cvt_u32_f32_e32 v1, v1
	v_sub_u32_e32 v2, v4, v2
	s_cmp_eq_u32 s28, 1
	v_mul_lo_u32 v3, s4, v1
	v_mul_hi_u32 v3, v1, v3
	v_add_u32_e32 v1, v1, v3
	v_mul_hi_u32 v1, v2, v1
	v_mul_lo_u32 v3, v1, s28
	v_sub_u32_e32 v2, v2, v3
	v_add_u32_e32 v4, 1, v1
	v_cmp_le_u32_e64 s[0:1], s28, v2
	v_subrev_u32_e32 v3, s28, v2
	v_cndmask_b32_e64 v1, v1, v4, s[0:1]
	v_cndmask_b32_e64 v2, v2, v3, s[0:1]
	v_add_u32_e32 v3, 1, v1
	v_cmp_le_u32_e64 s[0:1], s28, v2
	v_cndmask_b32_e64 v1, v1, v3, s[0:1]
	v_addc_co_u32_e32 v1, vcc, 1, v1, vcc
	v_cmp_lt_u32_e32 vcc, 3, v1
	s_cselect_b64 s[0:1], -1, 0
	s_and_b64 s[6:7], vcc, s[0:1]
	s_mov_b64 s[4:5], -1
	v_mov_b32_e32 v2, v0
	s_and_saveexec_b64 s[0:1], s[6:7]
	s_cbranch_execz .LBB11_50
; %bb.47:
	v_and_b32_e32 v6, -4, v1
	v_mov_b32_e32 v41, v40
	s_mov_b64 s[4:5], 0
	v_mov_b32_e32 v3, 0
	v_mov_b32_e32 v7, s30
	;; [unrolled: 1-line block ×4, first 2 shown]
	s_mov_b32 s6, 0x4f000000
	s_mov_b32 s7, 0xcf000000
	v_mov_b32_e32 v8, 0xcf000000
	v_bfrev_b32_e32 v9, -2
	s_movk_i32 s19, 0xff80
	v_mov_b32_e32 v10, 0x7f
	v_mov_b32_e32 v2, v0
	;; [unrolled: 1-line block ×3, first 2 shown]
.LBB11_48:                              ; =>This Inner Loop Header: Depth=1
	v_lshlrev_b64 v[12:13], 1, v[2:3]
	v_add_co_u32_e32 v12, vcc, s29, v12
	v_addc_co_u32_e32 v13, vcc, v7, v13, vcc
	global_load_dwordx2 v[12:13], v[12:13], off
	v_add_u32_e32 v11, -4, v11
	v_cmp_eq_u32_e32 vcc, 0, v11
	s_or_b64 s[4:5], vcc, s[4:5]
	s_waitcnt vmcnt(0)
	v_and_b32_e32 v15, 0xffff0000, v13
	v_lshlrev_b32_e32 v14, 16, v13
	v_pk_mul_f32 v[14:15], v[4:5], v[14:15]
	v_and_b32_e32 v13, 0xffff0000, v12
	v_lshlrev_b32_e32 v12, 16, v12
	v_rndne_f32_e32 v14, v14
	v_pk_mul_f32 v[12:13], v[40:41], v[12:13]
	v_rndne_f32_e32 v15, v15
	v_cmp_nge_f32_e32 vcc, s7, v14
	v_rndne_f32_e32 v12, v12
	v_cndmask_b32_e32 v16, v8, v14, vcc
	v_cmp_nge_f32_e32 vcc, s7, v15
	v_rndne_f32_e32 v13, v13
	v_cndmask_b32_e32 v17, v8, v15, vcc
	v_cmp_nge_f32_e32 vcc, s7, v12
	v_cvt_i32_f32_e32 v16, v16
	v_cndmask_b32_e32 v18, v8, v12, vcc
	v_cmp_nge_f32_e32 vcc, s7, v13
	v_cvt_i32_f32_e32 v17, v17
	v_cndmask_b32_e32 v19, v8, v13, vcc
	v_cvt_i32_f32_e32 v18, v18
	v_cvt_i32_f32_e32 v19, v19
	v_cmp_nle_f32_e32 vcc, s6, v14
	v_cndmask_b32_e32 v14, v9, v16, vcc
	v_cmp_nle_f32_e32 vcc, s6, v15
	v_cndmask_b32_e32 v15, v9, v17, vcc
	;; [unrolled: 2-line block ×4, first 2 shown]
	v_add_u32_e32 v13, v13, v38
	v_add_u32_e32 v15, v15, v38
	;; [unrolled: 1-line block ×4, first 2 shown]
	v_med3_i32 v15, v15, s19, v10
	v_med3_i32 v13, v13, s19, v10
	;; [unrolled: 1-line block ×4, first 2 shown]
	v_lshlrev_b16_e32 v13, 8, v13
	v_lshlrev_b16_e32 v15, 8, v15
	v_or_b32_sdwa v12, v12, v13 dst_sel:DWORD dst_unused:UNUSED_PAD src0_sel:BYTE_0 src1_sel:DWORD
	v_or_b32_sdwa v13, v14, v15 dst_sel:WORD_1 dst_unused:UNUSED_PAD src0_sel:BYTE_0 src1_sel:DWORD
	v_or_b32_sdwa v12, v12, v13 dst_sel:DWORD dst_unused:UNUSED_PAD src0_sel:WORD_0 src1_sel:DWORD
	global_store_dword v2, v12, s[16:17]
	v_add_u32_e32 v2, 4, v2
	s_andn2_b64 exec, exec, s[4:5]
	s_cbranch_execnz .LBB11_48
; %bb.49:
	s_or_b64 exec, exec, s[4:5]
	v_cmp_ne_u32_e32 vcc, v1, v6
	v_add_u32_e32 v2, v0, v6
	s_orn2_b64 s[4:5], vcc, exec
.LBB11_50:
	s_or_b64 exec, exec, s[0:1]
	s_and_b64 exec, exec, s[4:5]
	s_cbranch_execz .LBB11_57
; %bb.51:
	s_add_u32 s0, s14, s12
	s_addc_u32 s1, s15, s13
	v_mov_b32_e32 v3, 0
	v_mov_b32_e32 v4, s1
	v_add_co_u32_e32 v1, vcc, s0, v2
	s_add_u32 s0, s8, s10
	v_addc_co_u32_e32 v6, vcc, 0, v4, vcc
	v_lshlrev_b64 v[4:5], 1, v[2:3]
	s_addc_u32 s1, s9, s11
	s_mov_b32 s4, 0
	v_mov_b32_e32 v3, s1
	v_add_co_u32_e32 v4, vcc, s0, v4
	v_addc_co_u32_e32 v5, vcc, v3, v5, vcc
	s_lshl_b32 s19, s28, 1
	s_mov_b64 s[0:1], 0
	s_mov_b32 s22, 0x4f000000
	s_mov_b32 s23, 0xcf000000
	s_movk_i32 s24, 0xff80
	v_mov_b32_e32 v3, 0x7f
	v_mov_b32_e32 v7, s4
	s_mov_b64 s[4:5], 0
	s_branch .LBB11_54
.LBB11_52:                              ;   in Loop: Header=BB11_54 Depth=1
	s_or_b64 exec, exec, s[20:21]
.LBB11_53:                              ;   in Loop: Header=BB11_54 Depth=1
	s_or_b64 exec, exec, s[6:7]
	v_mov_b32_e32 v9, s5
	v_add_co_u32_e32 v10, vcc, s4, v1
	v_add_u32_e32 v8, v8, v38
	v_addc_co_u32_e32 v11, vcc, v6, v9, vcc
	v_med3_i32 v8, v8, s24, v3
	s_add_u32 s4, s4, s28
	global_store_byte v[10:11], v8, off
	v_add_u32_e32 v8, s4, v2
	s_addc_u32 s5, s5, 0
	v_cmp_le_i32_e32 vcc, s18, v8
	s_or_b64 s[0:1], vcc, s[0:1]
	v_add_co_u32_e32 v4, vcc, s19, v4
	v_addc_co_u32_e32 v5, vcc, v5, v7, vcc
	s_andn2_b64 exec, exec, s[0:1]
	s_cbranch_execz .LBB11_57
.LBB11_54:                              ; =>This Inner Loop Header: Depth=1
	global_load_ushort v8, v[4:5], off
	s_waitcnt vmcnt(0)
	v_lshlrev_b32_e32 v8, 16, v8
	v_mul_f32_e32 v8, v40, v8
	v_rndne_f32_e32 v9, v8
	v_cmp_nle_f32_e32 vcc, s22, v9
	v_bfrev_b32_e32 v8, -2
	s_and_saveexec_b64 s[6:7], vcc
	s_cbranch_execz .LBB11_53
; %bb.55:                               ;   in Loop: Header=BB11_54 Depth=1
	v_cmp_nge_f32_e32 vcc, s23, v9
	v_bfrev_b32_e32 v8, 1
	s_and_saveexec_b64 s[20:21], vcc
	s_cbranch_execz .LBB11_52
; %bb.56:                               ;   in Loop: Header=BB11_54 Depth=1
	v_cvt_i32_f32_e32 v8, v9
	s_branch .LBB11_52
.LBB11_57:
	s_or_b64 exec, exec, s[2:3]
	s_ashr_i32 s19, s18, 31
	s_lshl_b64 s[20:21], s[18:19], 1
	s_add_u32 s34, s29, s20
	s_addc_u32 s36, s30, s21
	s_add_u32 s35, s16, s18
	s_addc_u32 s37, s17, s19
	s_sub_i32 s33, s31, s18
	s_ashr_i32 s0, s33, 31
	s_lshr_b32 s0, s0, 28
	s_add_i32 s0, s33, s0
	s_ashr_i32 s38, s0, 4
	v_cmp_gt_i32_e32 vcc, s38, v0
	s_and_saveexec_b64 s[22:23], vcc
	s_cbranch_execz .LBB11_129
; %bb.58:
	v_cvt_f32_u32_e32 v1, s28
	v_add_u32_e32 v2, s28, v0
	v_mov_b32_e32 v3, s28
	s_sub_i32 s2, 0, s28
	v_rcp_iflag_f32_e32 v1, v1
	v_cmp_gt_i32_e32 vcc, s38, v2
	v_max_i32_e32 v4, s38, v2
	v_addc_co_u32_e64 v2, s[0:1], v0, v3, vcc
	v_mul_f32_e32 v1, 0x4f7ffffe, v1
	v_cvt_u32_f32_e32 v1, v1
	v_sub_u32_e32 v2, v4, v2
	s_cmp_eq_u32 s28, 1
	v_mov_b32_e32 v10, v0
	v_mul_lo_u32 v3, s2, v1
	v_mul_hi_u32 v3, v1, v3
	v_add_u32_e32 v1, v1, v3
	v_mul_hi_u32 v1, v2, v1
	v_mul_lo_u32 v3, v1, s28
	v_sub_u32_e32 v2, v2, v3
	v_add_u32_e32 v4, 1, v1
	v_cmp_le_u32_e64 s[0:1], s28, v2
	v_subrev_u32_e32 v3, s28, v2
	v_cndmask_b32_e64 v1, v1, v4, s[0:1]
	v_cndmask_b32_e64 v2, v2, v3, s[0:1]
	v_add_u32_e32 v3, 1, v1
	v_cmp_le_u32_e64 s[0:1], s28, v2
	v_cndmask_b32_e64 v1, v1, v3, s[0:1]
	v_addc_co_u32_e32 v39, vcc, 1, v1, vcc
	v_cmp_lt_u32_e32 vcc, 3, v39
	s_cselect_b64 s[0:1], -1, 0
	s_and_b64 s[2:3], vcc, s[0:1]
	s_mov_b64 s[0:1], -1
	s_and_saveexec_b64 s[24:25], s[2:3]
	s_cbranch_execz .LBB11_62
; %bb.59:
	v_add_u32_e32 v3, 3, v0
	v_add_u32_e32 v2, 2, v0
	v_and_b32_e32 v52, -4, v39
	v_add_u32_e32 v1, 1, v0
	v_pk_mov_b32 v[4:5], v[2:3], v[2:3] op_sel:[0,1]
	v_mov_b32_e32 v41, v40
	s_mov_b64 s[26:27], 0
	v_mov_b32_e32 v53, s36
	v_mov_b32_e32 v42, v40
	;; [unrolled: 1-line block ×3, first 2 shown]
	s_mov_b32 s39, 0x4f000000
	s_mov_b32 s40, 0xcf000000
	v_mov_b32_e32 v54, 0xcf000000
	v_bfrev_b32_e32 v55, -2
	s_movk_i32 s41, 0xff80
	v_mov_b32_e32 v56, 0x7f
	v_mov_b32_e32 v57, s37
	;; [unrolled: 1-line block ×4, first 2 shown]
	v_pk_mov_b32 v[2:3], v[0:1], v[0:1] op_sel:[0,1]
.LBB11_60:                              ; =>This Inner Loop Header: Depth=1
	v_mov_b32_e32 v44, v2
	v_lshlrev_b64 v[6:7], 5, v[44:45]
	v_add_co_u32_e32 v18, vcc, s34, v6
	v_mov_b32_e32 v46, v3
	v_mov_b32_e32 v47, v45
	v_addc_co_u32_e32 v19, vcc, v53, v7, vcc
	v_lshlrev_b64 v[6:7], 5, v[46:47]
	v_add_co_u32_e32 v20, vcc, s34, v6
	v_mov_b32_e32 v48, v4
	v_mov_b32_e32 v49, v45
	v_addc_co_u32_e32 v21, vcc, v53, v7, vcc
	;; [unrolled: 5-line block ×3, first 2 shown]
	v_lshlrev_b64 v[6:7], 5, v[50:51]
	v_add_co_u32_e32 v62, vcc, s34, v6
	v_addc_co_u32_e32 v63, vcc, v53, v7, vcc
	global_load_dwordx4 v[22:25], v[18:19], off
	global_load_dwordx4 v[26:29], v[20:21], off
	;; [unrolled: 1-line block ×4, first 2 shown]
	global_load_dwordx4 v[6:9], v[18:19], off offset:16
	global_load_dwordx4 v[10:13], v[20:21], off offset:16
	;; [unrolled: 1-line block ×3, first 2 shown]
                                        ; kill: killed $vgpr18 killed $vgpr19
                                        ; kill: killed $vgpr60 killed $vgpr61
                                        ; kill: killed $vgpr20 killed $vgpr21
	s_nop 0
	global_load_dwordx4 v[18:21], v[62:63], off offset:16
	v_lshlrev_b64 v[46:47], 4, v[46:47]
	v_lshlrev_b64 v[48:49], 4, v[48:49]
	;; [unrolled: 1-line block ×3, first 2 shown]
	v_add_u32_e32 v58, -4, v58
	v_add_u32_e32 v5, 4, v5
	v_add_u32_e32 v4, 4, v4
	;; [unrolled: 1-line block ×4, first 2 shown]
	s_waitcnt vmcnt(7)
	v_lshlrev_b32_e32 v62, 16, v22
	s_waitcnt vmcnt(6)
	v_lshlrev_b32_e32 v63, 16, v26
	;; [unrolled: 2-line block ×4, first 2 shown]
	v_pk_mul_f32 v[60:61], v[42:43], v[60:61]
	v_rndne_f32_e32 v1, v60
	v_pk_mul_f32 v[62:63], v[40:41], v[62:63]
	v_rndne_f32_e32 v59, v61
	v_cmp_nge_f32_e64 s[6:7], s40, v1
	v_rndne_f32_e32 v60, v62
	v_cmp_nle_f32_e64 s[4:5], s39, v1
	v_cndmask_b32_e64 v1, v54, v1, s[6:7]
	v_cmp_nge_f32_e64 s[6:7], s40, v59
	v_rndne_f32_e32 v61, v63
	v_cmp_nle_f32_e64 s[2:3], s39, v59
	v_cndmask_b32_e64 v59, v54, v59, s[6:7]
	v_cmp_nge_f32_e64 s[6:7], s40, v60
	v_cmp_nle_f32_e64 s[0:1], s39, v60
	v_cndmask_b32_e64 v60, v54, v60, s[6:7]
	v_cmp_nge_f32_e64 s[6:7], s40, v61
	v_cmp_nle_f32_e32 vcc, s39, v61
	v_cndmask_b32_e64 v61, v54, v61, s[6:7]
	v_cvt_i32_f32_e32 v61, v61
	v_cvt_i32_f32_e32 v60, v60
	;; [unrolled: 1-line block ×4, first 2 shown]
	v_cndmask_b32_e32 v61, v55, v61, vcc
	v_cndmask_b32_e64 v60, v55, v60, s[0:1]
	v_cndmask_b32_e64 v59, v55, v59, s[2:3]
	v_add_u32_e32 v61, v61, v38
	v_add_u32_e32 v60, v60, v38
	;; [unrolled: 1-line block ×3, first 2 shown]
	v_med3_i32 v64, v59, s41, v56
	v_med3_i32 v59, v60, s41, v56
	;; [unrolled: 1-line block ×3, first 2 shown]
	v_lshlrev_b16_e32 v60, 8, v60
	v_or_b32_sdwa v59, v59, v60 dst_sel:DWORD dst_unused:UNUSED_PAD src0_sel:BYTE_0 src1_sel:DWORD
	v_and_b32_e32 v61, 0xffff0000, v34
	v_and_b32_e32 v60, 0xffff0000, v30
	;; [unrolled: 1-line block ×4, first 2 shown]
	v_pk_mul_f32 v[60:61], v[42:43], v[60:61]
	v_pk_mul_f32 v[62:63], v[40:41], v[62:63]
	v_rndne_f32_e32 v22, v60
	v_rndne_f32_e32 v26, v62
	v_cmp_nge_f32_e64 s[6:7], s40, v22
	v_cndmask_b32_e64 v1, v55, v1, s[4:5]
	v_rndne_f32_e32 v30, v63
	v_cmp_nle_f32_e64 s[4:5], s39, v22
	v_cndmask_b32_e64 v22, v54, v22, s[6:7]
	v_cmp_nge_f32_e64 s[6:7], s40, v26
	v_cmp_nle_f32_e64 s[2:3], s39, v26
	v_cndmask_b32_e64 v26, v54, v26, s[6:7]
	v_cmp_nge_f32_e64 s[6:7], s40, v30
	v_cmp_nle_f32_e64 s[0:1], s39, v30
	v_cndmask_b32_e64 v30, v54, v30, s[6:7]
	v_cvt_i32_f32_e32 v30, v30
	v_rndne_f32_e32 v34, v61
	v_cvt_i32_f32_e32 v26, v26
	v_cmp_nge_f32_e64 s[6:7], s40, v34
	v_cmp_nle_f32_e32 vcc, s39, v34
	v_cndmask_b32_e64 v34, v54, v34, s[6:7]
	v_cvt_i32_f32_e32 v34, v34
	v_cvt_i32_f32_e32 v22, v22
	v_cndmask_b32_e64 v30, v55, v30, s[0:1]
	v_cndmask_b32_e64 v26, v55, v26, s[2:3]
	v_add_u32_e32 v30, v30, v38
	v_add_u32_e32 v60, v26, v38
	v_med3_i32 v30, v30, s41, v56
	v_med3_i32 v60, v60, s41, v56
	v_lshlrev_b16_e32 v30, 8, v30
	v_cndmask_b32_e64 v22, v55, v22, s[4:5]
	v_cndmask_b32_e32 v34, v55, v34, vcc
	v_or_b32_sdwa v30, v60, v30 dst_sel:DWORD dst_unused:UNUSED_PAD src0_sel:BYTE_0 src1_sel:DWORD
	v_lshlrev_b32_e32 v61, 16, v35
	v_lshlrev_b32_e32 v60, 16, v31
	v_add_u32_e32 v34, v34, v38
	v_add_u32_e32 v22, v22, v38
	v_pk_mul_f32 v[60:61], v[42:43], v[60:61]
	v_med3_i32 v26, v22, s41, v56
	v_med3_i32 v22, v34, s41, v56
	v_lshlrev_b32_e32 v63, 16, v27
	v_lshlrev_b32_e32 v62, 16, v23
	v_rndne_f32_e32 v34, v60
	v_pk_mul_f32 v[62:63], v[40:41], v[62:63]
	v_rndne_f32_e32 v60, v61
	v_cmp_nge_f32_e64 s[6:7], s40, v34
	v_rndne_f32_e32 v61, v62
	v_cmp_nle_f32_e64 s[4:5], s39, v34
	v_cndmask_b32_e64 v34, v54, v34, s[6:7]
	v_cmp_nge_f32_e64 s[6:7], s40, v60
	v_rndne_f32_e32 v62, v63
	v_cmp_nle_f32_e64 s[2:3], s39, v60
	v_cndmask_b32_e64 v60, v54, v60, s[6:7]
	v_cmp_nge_f32_e64 s[6:7], s40, v61
	v_cmp_nle_f32_e64 s[0:1], s39, v61
	v_cndmask_b32_e64 v61, v54, v61, s[6:7]
	v_cmp_nge_f32_e64 s[6:7], s40, v62
	v_cmp_nle_f32_e32 vcc, s39, v62
	v_cndmask_b32_e64 v62, v54, v62, s[6:7]
	v_cvt_i32_f32_e32 v62, v62
	v_cvt_i32_f32_e32 v61, v61
	;; [unrolled: 1-line block ×3, first 2 shown]
	v_lshlrev_b16_e32 v22, 8, v22
	v_cndmask_b32_e32 v62, v55, v62, vcc
	v_cndmask_b32_e64 v61, v55, v61, s[0:1]
	v_cndmask_b32_e64 v60, v55, v60, s[2:3]
	v_add_u32_e32 v62, v62, v38
	v_add_u32_e32 v61, v61, v38
	;; [unrolled: 1-line block ×3, first 2 shown]
	v_cvt_i32_f32_e32 v34, v34
	v_med3_i32 v66, v60, s41, v56
	v_med3_i32 v60, v61, s41, v56
	;; [unrolled: 1-line block ×3, first 2 shown]
	v_and_b32_e32 v63, 0xffff0000, v35
	v_and_b32_e32 v62, 0xffff0000, v31
	v_or_b32_sdwa v22, v64, v22 dst_sel:DWORD dst_unused:UNUSED_PAD src0_sel:BYTE_0 src1_sel:DWORD
	v_and_b32_e32 v65, 0xffff0000, v27
	v_and_b32_e32 v64, 0xffff0000, v23
	v_pk_mul_f32 v[62:63], v[42:43], v[62:63]
	v_pk_mul_f32 v[64:65], v[40:41], v[64:65]
	v_rndne_f32_e32 v23, v62
	v_rndne_f32_e32 v27, v64
	v_cmp_nge_f32_e64 s[6:7], s40, v23
	v_cndmask_b32_e64 v34, v55, v34, s[4:5]
	v_rndne_f32_e32 v31, v65
	v_cmp_nle_f32_e64 s[4:5], s39, v23
	v_cndmask_b32_e64 v23, v54, v23, s[6:7]
	v_cmp_nge_f32_e64 s[6:7], s40, v27
	v_rndne_f32_e32 v35, v63
	v_cmp_nle_f32_e64 s[2:3], s39, v27
	v_cndmask_b32_e64 v27, v54, v27, s[6:7]
	v_cmp_nge_f32_e64 s[6:7], s40, v31
	v_cmp_nle_f32_e64 s[0:1], s39, v31
	v_cndmask_b32_e64 v31, v54, v31, s[6:7]
	v_cmp_nge_f32_e64 s[6:7], s40, v35
	v_cmp_nle_f32_e32 vcc, s39, v35
	v_cndmask_b32_e64 v35, v54, v35, s[6:7]
	v_cvt_i32_f32_e32 v31, v31
	v_cvt_i32_f32_e32 v35, v35
	v_cvt_i32_f32_e32 v27, v27
	v_cvt_i32_f32_e32 v23, v23
	v_cndmask_b32_e64 v31, v55, v31, s[0:1]
	v_lshlrev_b16_e32 v61, 8, v61
	v_cndmask_b32_e64 v27, v55, v27, s[2:3]
	v_cndmask_b32_e64 v23, v55, v23, s[4:5]
	v_cndmask_b32_e32 v35, v55, v35, vcc
	v_add_u32_e32 v31, v31, v38
	v_lshlrev_b32_e32 v63, 16, v36
	v_lshlrev_b32_e32 v62, 16, v32
	v_or_b32_sdwa v60, v60, v61 dst_sel:DWORD dst_unused:UNUSED_PAD src0_sel:BYTE_0 src1_sel:DWORD
	v_add_u32_e32 v35, v35, v38
	v_add_u32_e32 v61, v27, v38
	;; [unrolled: 1-line block ×3, first 2 shown]
	v_med3_i32 v31, v31, s41, v56
	v_pk_mul_f32 v[62:63], v[42:43], v[62:63]
	v_med3_i32 v27, v23, s41, v56
	v_med3_i32 v61, v61, s41, v56
	;; [unrolled: 1-line block ×3, first 2 shown]
	v_lshlrev_b16_e32 v31, 8, v31
	v_lshlrev_b32_e32 v65, 16, v28
	v_lshlrev_b32_e32 v64, 16, v24
	v_rndne_f32_e32 v35, v62
	v_or_b32_sdwa v31, v61, v31 dst_sel:DWORD dst_unused:UNUSED_PAD src0_sel:BYTE_0 src1_sel:DWORD
	v_pk_mul_f32 v[64:65], v[40:41], v[64:65]
	v_rndne_f32_e32 v61, v63
	v_cmp_nge_f32_e64 s[6:7], s40, v35
	v_rndne_f32_e32 v62, v64
	v_cmp_nle_f32_e64 s[4:5], s39, v35
	v_cndmask_b32_e64 v35, v54, v35, s[6:7]
	v_cmp_nge_f32_e64 s[6:7], s40, v61
	v_rndne_f32_e32 v63, v65
	v_cmp_nle_f32_e64 s[2:3], s39, v61
	v_cndmask_b32_e64 v61, v54, v61, s[6:7]
	v_cmp_nge_f32_e64 s[6:7], s40, v62
	v_cmp_nle_f32_e64 s[0:1], s39, v62
	v_cndmask_b32_e64 v62, v54, v62, s[6:7]
	v_cmp_nge_f32_e64 s[6:7], s40, v63
	v_cmp_nle_f32_e32 vcc, s39, v63
	v_cndmask_b32_e64 v63, v54, v63, s[6:7]
	v_cvt_i32_f32_e32 v63, v63
	v_cvt_i32_f32_e32 v62, v62
	;; [unrolled: 1-line block ×3, first 2 shown]
	v_lshlrev_b16_e32 v23, 8, v23
	v_cndmask_b32_e32 v63, v55, v63, vcc
	v_cndmask_b32_e64 v62, v55, v62, s[0:1]
	v_cndmask_b32_e64 v61, v55, v61, s[2:3]
	v_add_u32_e32 v63, v63, v38
	v_add_u32_e32 v62, v62, v38
	;; [unrolled: 1-line block ×3, first 2 shown]
	v_or_b32_sdwa v23, v66, v23 dst_sel:WORD_1 dst_unused:UNUSED_PAD src0_sel:BYTE_0 src1_sel:DWORD
	v_med3_i32 v66, v61, s41, v56
	v_med3_i32 v61, v62, s41, v56
	;; [unrolled: 1-line block ×3, first 2 shown]
	v_lshlrev_b16_e32 v62, 8, v62
	v_cvt_i32_f32_e32 v35, v35
	v_or_b32_sdwa v61, v61, v62 dst_sel:DWORD dst_unused:UNUSED_PAD src0_sel:BYTE_0 src1_sel:DWORD
	v_and_b32_e32 v63, 0xffff0000, v36
	v_and_b32_e32 v62, 0xffff0000, v32
	;; [unrolled: 1-line block ×4, first 2 shown]
	v_pk_mul_f32 v[62:63], v[42:43], v[62:63]
	v_pk_mul_f32 v[64:65], v[40:41], v[64:65]
	v_rndne_f32_e32 v24, v62
	v_rndne_f32_e32 v28, v64
	v_cmp_nge_f32_e64 s[6:7], s40, v24
	v_cndmask_b32_e64 v35, v55, v35, s[4:5]
	v_rndne_f32_e32 v32, v65
	v_cmp_nle_f32_e64 s[4:5], s39, v24
	v_cndmask_b32_e64 v24, v54, v24, s[6:7]
	v_cmp_nge_f32_e64 s[6:7], s40, v28
	v_cmp_nle_f32_e64 s[2:3], s39, v28
	v_cndmask_b32_e64 v28, v54, v28, s[6:7]
	v_cmp_nge_f32_e64 s[6:7], s40, v32
	v_cmp_nle_f32_e64 s[0:1], s39, v32
	v_cndmask_b32_e64 v32, v54, v32, s[6:7]
	v_cvt_i32_f32_e32 v32, v32
	v_rndne_f32_e32 v36, v63
	v_cvt_i32_f32_e32 v28, v28
	v_cmp_nge_f32_e64 s[6:7], s40, v36
	v_cmp_nle_f32_e32 vcc, s39, v36
	v_cndmask_b32_e64 v36, v54, v36, s[6:7]
	v_cvt_i32_f32_e32 v36, v36
	v_cvt_i32_f32_e32 v24, v24
	v_cndmask_b32_e64 v32, v55, v32, s[0:1]
	v_cndmask_b32_e64 v28, v55, v28, s[2:3]
	v_add_u32_e32 v32, v32, v38
	v_add_u32_e32 v62, v28, v38
	v_med3_i32 v32, v32, s41, v56
	v_med3_i32 v62, v62, s41, v56
	v_lshlrev_b16_e32 v32, 8, v32
	v_cndmask_b32_e64 v24, v55, v24, s[4:5]
	v_cndmask_b32_e32 v36, v55, v36, vcc
	v_or_b32_sdwa v32, v62, v32 dst_sel:DWORD dst_unused:UNUSED_PAD src0_sel:BYTE_0 src1_sel:DWORD
	v_lshlrev_b32_e32 v63, 16, v37
	v_lshlrev_b32_e32 v62, 16, v33
	v_add_u32_e32 v36, v36, v38
	v_add_u32_e32 v24, v24, v38
	v_pk_mul_f32 v[62:63], v[42:43], v[62:63]
	v_med3_i32 v28, v24, s41, v56
	v_med3_i32 v24, v36, s41, v56
	v_lshlrev_b32_e32 v65, 16, v29
	v_lshlrev_b32_e32 v64, 16, v25
	v_rndne_f32_e32 v36, v62
	v_pk_mul_f32 v[64:65], v[40:41], v[64:65]
	v_rndne_f32_e32 v62, v63
	v_cmp_nge_f32_e64 s[6:7], s40, v36
	v_rndne_f32_e32 v63, v64
	v_cmp_nle_f32_e64 s[4:5], s39, v36
	v_cndmask_b32_e64 v36, v54, v36, s[6:7]
	v_cmp_nge_f32_e64 s[6:7], s40, v62
	v_rndne_f32_e32 v64, v65
	v_cmp_nle_f32_e64 s[2:3], s39, v62
	v_cndmask_b32_e64 v62, v54, v62, s[6:7]
	v_cmp_nge_f32_e64 s[6:7], s40, v63
	v_cmp_nle_f32_e64 s[0:1], s39, v63
	v_cndmask_b32_e64 v63, v54, v63, s[6:7]
	v_cmp_nge_f32_e64 s[6:7], s40, v64
	v_cmp_nle_f32_e32 vcc, s39, v64
	v_cndmask_b32_e64 v64, v54, v64, s[6:7]
	v_cvt_i32_f32_e32 v64, v64
	v_cvt_i32_f32_e32 v63, v63
	v_cvt_i32_f32_e32 v62, v62
	v_lshlrev_b16_e32 v24, 8, v24
	v_cndmask_b32_e32 v64, v55, v64, vcc
	v_cndmask_b32_e64 v63, v55, v63, s[0:1]
	v_cndmask_b32_e64 v62, v55, v62, s[2:3]
	v_add_u32_e32 v64, v64, v38
	v_add_u32_e32 v63, v63, v38
	;; [unrolled: 1-line block ×3, first 2 shown]
	v_cvt_i32_f32_e32 v36, v36
	v_med3_i32 v68, v62, s41, v56
	v_med3_i32 v62, v63, s41, v56
	;; [unrolled: 1-line block ×3, first 2 shown]
	v_and_b32_e32 v65, 0xffff0000, v37
	v_and_b32_e32 v64, 0xffff0000, v33
	v_or_b32_sdwa v24, v66, v24 dst_sel:DWORD dst_unused:UNUSED_PAD src0_sel:BYTE_0 src1_sel:DWORD
	v_and_b32_e32 v67, 0xffff0000, v29
	v_and_b32_e32 v66, 0xffff0000, v25
	v_pk_mul_f32 v[64:65], v[42:43], v[64:65]
	v_pk_mul_f32 v[66:67], v[40:41], v[66:67]
	v_rndne_f32_e32 v25, v64
	v_rndne_f32_e32 v29, v66
	v_cmp_nge_f32_e64 s[6:7], s40, v25
	v_cndmask_b32_e64 v36, v55, v36, s[4:5]
	v_rndne_f32_e32 v33, v67
	v_cmp_nle_f32_e64 s[4:5], s39, v25
	v_cndmask_b32_e64 v25, v54, v25, s[6:7]
	v_cmp_nge_f32_e64 s[6:7], s40, v29
	v_rndne_f32_e32 v37, v65
	v_cmp_nle_f32_e64 s[2:3], s39, v29
	v_cndmask_b32_e64 v29, v54, v29, s[6:7]
	v_cmp_nge_f32_e64 s[6:7], s40, v33
	v_cmp_nle_f32_e64 s[0:1], s39, v33
	v_cndmask_b32_e64 v33, v54, v33, s[6:7]
	v_cmp_nge_f32_e64 s[6:7], s40, v37
	v_cmp_nle_f32_e32 vcc, s39, v37
	v_cndmask_b32_e64 v37, v54, v37, s[6:7]
	v_cvt_i32_f32_e32 v33, v33
	v_cvt_i32_f32_e32 v37, v37
	;; [unrolled: 1-line block ×4, first 2 shown]
	v_cndmask_b32_e64 v33, v55, v33, s[0:1]
	v_lshlrev_b16_e32 v63, 8, v63
	v_cndmask_b32_e64 v29, v55, v29, s[2:3]
	v_cndmask_b32_e64 v25, v55, v25, s[4:5]
	v_cndmask_b32_e32 v37, v55, v37, vcc
	v_add_u32_e32 v33, v33, v38
	s_waitcnt vmcnt(0)
	v_lshlrev_b32_e32 v65, 16, v18
	v_lshlrev_b32_e32 v64, 16, v14
	v_or_b32_sdwa v62, v62, v63 dst_sel:DWORD dst_unused:UNUSED_PAD src0_sel:BYTE_0 src1_sel:DWORD
	v_add_u32_e32 v37, v37, v38
	v_add_u32_e32 v63, v29, v38
	;; [unrolled: 1-line block ×3, first 2 shown]
	v_med3_i32 v33, v33, s41, v56
	v_pk_mul_f32 v[64:65], v[42:43], v[64:65]
	v_med3_i32 v29, v25, s41, v56
	v_med3_i32 v63, v63, s41, v56
	v_med3_i32 v25, v37, s41, v56
	v_lshlrev_b16_e32 v33, 8, v33
	v_lshlrev_b32_e32 v67, 16, v10
	v_lshlrev_b32_e32 v66, 16, v6
	v_rndne_f32_e32 v37, v64
	v_or_b32_sdwa v33, v63, v33 dst_sel:DWORD dst_unused:UNUSED_PAD src0_sel:BYTE_0 src1_sel:DWORD
	v_pk_mul_f32 v[66:67], v[40:41], v[66:67]
	v_rndne_f32_e32 v63, v65
	v_cmp_nge_f32_e64 s[6:7], s40, v37
	v_rndne_f32_e32 v64, v66
	v_cmp_nle_f32_e64 s[4:5], s39, v37
	v_cndmask_b32_e64 v37, v54, v37, s[6:7]
	v_cmp_nge_f32_e64 s[6:7], s40, v63
	v_rndne_f32_e32 v65, v67
	v_cmp_nle_f32_e64 s[2:3], s39, v63
	v_cndmask_b32_e64 v63, v54, v63, s[6:7]
	v_cmp_nge_f32_e64 s[6:7], s40, v64
	v_cmp_nle_f32_e64 s[0:1], s39, v64
	v_cndmask_b32_e64 v64, v54, v64, s[6:7]
	v_cmp_nge_f32_e64 s[6:7], s40, v65
	v_cmp_nle_f32_e32 vcc, s39, v65
	v_cndmask_b32_e64 v65, v54, v65, s[6:7]
	v_cvt_i32_f32_e32 v65, v65
	v_cvt_i32_f32_e32 v64, v64
	v_cvt_i32_f32_e32 v63, v63
	v_lshlrev_b16_e32 v25, 8, v25
	v_cndmask_b32_e32 v65, v55, v65, vcc
	v_cndmask_b32_e64 v64, v55, v64, s[0:1]
	v_cndmask_b32_e64 v63, v55, v63, s[2:3]
	v_add_u32_e32 v65, v65, v38
	v_add_u32_e32 v64, v64, v38
	;; [unrolled: 1-line block ×3, first 2 shown]
	v_or_b32_sdwa v25, v68, v25 dst_sel:WORD_1 dst_unused:UNUSED_PAD src0_sel:BYTE_0 src1_sel:DWORD
	v_med3_i32 v68, v63, s41, v56
	v_med3_i32 v63, v64, s41, v56
	v_med3_i32 v64, v65, s41, v56
	v_lshlrev_b16_e32 v64, 8, v64
	v_cvt_i32_f32_e32 v37, v37
	v_or_b32_sdwa v63, v63, v64 dst_sel:DWORD dst_unused:UNUSED_PAD src0_sel:BYTE_0 src1_sel:DWORD
	v_and_b32_e32 v65, 0xffff0000, v18
	v_and_b32_e32 v64, 0xffff0000, v14
	;; [unrolled: 1-line block ×4, first 2 shown]
	v_pk_mul_f32 v[64:65], v[42:43], v[64:65]
	v_pk_mul_f32 v[66:67], v[40:41], v[66:67]
	v_rndne_f32_e32 v6, v64
	v_rndne_f32_e32 v10, v66
	v_cmp_nge_f32_e64 s[6:7], s40, v6
	v_cndmask_b32_e64 v37, v55, v37, s[4:5]
	v_rndne_f32_e32 v14, v67
	v_cmp_nle_f32_e64 s[4:5], s39, v6
	v_cndmask_b32_e64 v6, v54, v6, s[6:7]
	v_cmp_nge_f32_e64 s[6:7], s40, v10
	v_cmp_nle_f32_e64 s[2:3], s39, v10
	v_cndmask_b32_e64 v10, v54, v10, s[6:7]
	v_cmp_nge_f32_e64 s[6:7], s40, v14
	v_cmp_nle_f32_e64 s[0:1], s39, v14
	v_cndmask_b32_e64 v14, v54, v14, s[6:7]
	v_cvt_i32_f32_e32 v14, v14
	v_rndne_f32_e32 v18, v65
	v_cvt_i32_f32_e32 v10, v10
	v_cmp_nge_f32_e64 s[6:7], s40, v18
	v_cmp_nle_f32_e32 vcc, s39, v18
	v_cndmask_b32_e64 v18, v54, v18, s[6:7]
	v_cvt_i32_f32_e32 v18, v18
	v_cvt_i32_f32_e32 v6, v6
	v_cndmask_b32_e64 v14, v55, v14, s[0:1]
	v_cndmask_b32_e64 v10, v55, v10, s[2:3]
	v_add_u32_e32 v14, v14, v38
	v_add_u32_e32 v64, v10, v38
	v_med3_i32 v14, v14, s41, v56
	v_med3_i32 v64, v64, s41, v56
	v_lshlrev_b16_e32 v14, 8, v14
	v_cndmask_b32_e64 v6, v55, v6, s[4:5]
	v_cndmask_b32_e32 v18, v55, v18, vcc
	v_or_b32_sdwa v14, v64, v14 dst_sel:DWORD dst_unused:UNUSED_PAD src0_sel:BYTE_0 src1_sel:DWORD
	v_lshlrev_b32_e32 v65, 16, v19
	v_lshlrev_b32_e32 v64, 16, v15
	v_add_u32_e32 v18, v18, v38
	v_add_u32_e32 v6, v6, v38
	v_pk_mul_f32 v[64:65], v[42:43], v[64:65]
	v_med3_i32 v10, v6, s41, v56
	v_med3_i32 v6, v18, s41, v56
	v_lshlrev_b32_e32 v67, 16, v11
	v_lshlrev_b32_e32 v66, 16, v7
	v_rndne_f32_e32 v18, v64
	v_pk_mul_f32 v[66:67], v[40:41], v[66:67]
	v_rndne_f32_e32 v64, v65
	v_cmp_nge_f32_e64 s[6:7], s40, v18
	v_rndne_f32_e32 v65, v66
	v_cmp_nle_f32_e64 s[4:5], s39, v18
	v_cndmask_b32_e64 v18, v54, v18, s[6:7]
	v_cmp_nge_f32_e64 s[6:7], s40, v64
	v_rndne_f32_e32 v66, v67
	v_cmp_nle_f32_e64 s[2:3], s39, v64
	v_cndmask_b32_e64 v64, v54, v64, s[6:7]
	v_cmp_nge_f32_e64 s[6:7], s40, v65
	v_cmp_nle_f32_e64 s[0:1], s39, v65
	v_cndmask_b32_e64 v65, v54, v65, s[6:7]
	v_cmp_nge_f32_e64 s[6:7], s40, v66
	v_cmp_nle_f32_e32 vcc, s39, v66
	v_cndmask_b32_e64 v66, v54, v66, s[6:7]
	v_cvt_i32_f32_e32 v66, v66
	v_cvt_i32_f32_e32 v65, v65
	v_cvt_i32_f32_e32 v64, v64
	v_lshlrev_b16_e32 v6, 8, v6
	v_cndmask_b32_e32 v66, v55, v66, vcc
	v_cndmask_b32_e64 v65, v55, v65, s[0:1]
	v_cndmask_b32_e64 v64, v55, v64, s[2:3]
	v_add_u32_e32 v66, v66, v38
	v_add_u32_e32 v65, v65, v38
	;; [unrolled: 1-line block ×3, first 2 shown]
	v_cvt_i32_f32_e32 v18, v18
	v_med3_i32 v70, v64, s41, v56
	v_med3_i32 v64, v65, s41, v56
	;; [unrolled: 1-line block ×3, first 2 shown]
	v_and_b32_e32 v67, 0xffff0000, v19
	v_and_b32_e32 v66, 0xffff0000, v15
	v_or_b32_sdwa v6, v68, v6 dst_sel:DWORD dst_unused:UNUSED_PAD src0_sel:BYTE_0 src1_sel:DWORD
	v_and_b32_e32 v69, 0xffff0000, v11
	v_and_b32_e32 v68, 0xffff0000, v7
	v_pk_mul_f32 v[66:67], v[42:43], v[66:67]
	v_pk_mul_f32 v[68:69], v[40:41], v[68:69]
	v_rndne_f32_e32 v7, v66
	v_rndne_f32_e32 v11, v68
	v_cmp_nge_f32_e64 s[6:7], s40, v7
	v_cndmask_b32_e64 v18, v55, v18, s[4:5]
	v_rndne_f32_e32 v15, v69
	v_cmp_nle_f32_e64 s[4:5], s39, v7
	v_cndmask_b32_e64 v7, v54, v7, s[6:7]
	v_cmp_nge_f32_e64 s[6:7], s40, v11
	v_rndne_f32_e32 v19, v67
	v_cmp_nle_f32_e64 s[2:3], s39, v11
	v_cndmask_b32_e64 v11, v54, v11, s[6:7]
	v_cmp_nge_f32_e64 s[6:7], s40, v15
	v_cmp_nle_f32_e64 s[0:1], s39, v15
	v_cndmask_b32_e64 v15, v54, v15, s[6:7]
	v_cmp_nge_f32_e64 s[6:7], s40, v19
	v_cmp_nle_f32_e32 vcc, s39, v19
	v_cndmask_b32_e64 v19, v54, v19, s[6:7]
	v_cvt_i32_f32_e32 v15, v15
	v_cvt_i32_f32_e32 v19, v19
	;; [unrolled: 1-line block ×4, first 2 shown]
	v_cndmask_b32_e64 v15, v55, v15, s[0:1]
	v_lshlrev_b16_e32 v65, 8, v65
	v_cndmask_b32_e64 v11, v55, v11, s[2:3]
	v_cndmask_b32_e64 v7, v55, v7, s[4:5]
	v_cndmask_b32_e32 v19, v55, v19, vcc
	v_add_u32_e32 v15, v15, v38
	v_lshlrev_b32_e32 v67, 16, v20
	v_lshlrev_b32_e32 v66, 16, v16
	v_or_b32_sdwa v64, v64, v65 dst_sel:DWORD dst_unused:UNUSED_PAD src0_sel:BYTE_0 src1_sel:DWORD
	v_add_u32_e32 v19, v19, v38
	v_add_u32_e32 v65, v11, v38
	;; [unrolled: 1-line block ×3, first 2 shown]
	v_med3_i32 v15, v15, s41, v56
	v_pk_mul_f32 v[66:67], v[42:43], v[66:67]
	v_med3_i32 v11, v7, s41, v56
	v_med3_i32 v65, v65, s41, v56
	;; [unrolled: 1-line block ×3, first 2 shown]
	v_lshlrev_b16_e32 v15, 8, v15
	v_lshlrev_b32_e32 v69, 16, v12
	v_lshlrev_b32_e32 v68, 16, v8
	v_rndne_f32_e32 v19, v66
	v_or_b32_sdwa v15, v65, v15 dst_sel:DWORD dst_unused:UNUSED_PAD src0_sel:BYTE_0 src1_sel:DWORD
	v_pk_mul_f32 v[68:69], v[40:41], v[68:69]
	v_rndne_f32_e32 v65, v67
	v_cmp_nge_f32_e64 s[6:7], s40, v19
	v_rndne_f32_e32 v66, v68
	v_cmp_nle_f32_e64 s[4:5], s39, v19
	v_cndmask_b32_e64 v19, v54, v19, s[6:7]
	v_cmp_nge_f32_e64 s[6:7], s40, v65
	v_rndne_f32_e32 v67, v69
	v_cmp_nle_f32_e64 s[2:3], s39, v65
	v_cndmask_b32_e64 v65, v54, v65, s[6:7]
	v_cmp_nge_f32_e64 s[6:7], s40, v66
	v_cmp_nle_f32_e64 s[0:1], s39, v66
	v_cndmask_b32_e64 v66, v54, v66, s[6:7]
	v_cmp_nge_f32_e64 s[6:7], s40, v67
	v_cmp_nle_f32_e32 vcc, s39, v67
	v_cndmask_b32_e64 v67, v54, v67, s[6:7]
	v_cvt_i32_f32_e32 v67, v67
	v_cvt_i32_f32_e32 v66, v66
	;; [unrolled: 1-line block ×3, first 2 shown]
	v_lshlrev_b16_e32 v7, 8, v7
	v_cndmask_b32_e32 v67, v55, v67, vcc
	v_cndmask_b32_e64 v66, v55, v66, s[0:1]
	v_cndmask_b32_e64 v65, v55, v65, s[2:3]
	v_add_u32_e32 v67, v67, v38
	v_add_u32_e32 v66, v66, v38
	v_add_u32_e32 v65, v65, v38
	v_or_b32_sdwa v7, v70, v7 dst_sel:WORD_1 dst_unused:UNUSED_PAD src0_sel:BYTE_0 src1_sel:DWORD
	v_med3_i32 v70, v65, s41, v56
	v_med3_i32 v65, v66, s41, v56
	;; [unrolled: 1-line block ×3, first 2 shown]
	v_lshlrev_b16_e32 v66, 8, v66
	v_cvt_i32_f32_e32 v19, v19
	v_or_b32_sdwa v65, v65, v66 dst_sel:DWORD dst_unused:UNUSED_PAD src0_sel:BYTE_0 src1_sel:DWORD
	v_and_b32_e32 v67, 0xffff0000, v20
	v_and_b32_e32 v66, 0xffff0000, v16
	;; [unrolled: 1-line block ×4, first 2 shown]
	v_pk_mul_f32 v[66:67], v[42:43], v[66:67]
	v_pk_mul_f32 v[68:69], v[40:41], v[68:69]
	v_rndne_f32_e32 v8, v66
	v_rndne_f32_e32 v12, v68
	v_cmp_nge_f32_e64 s[6:7], s40, v8
	v_cndmask_b32_e64 v19, v55, v19, s[4:5]
	v_rndne_f32_e32 v16, v69
	v_cmp_nle_f32_e64 s[4:5], s39, v8
	v_cndmask_b32_e64 v8, v54, v8, s[6:7]
	v_cmp_nge_f32_e64 s[6:7], s40, v12
	v_cmp_nle_f32_e64 s[2:3], s39, v12
	v_cndmask_b32_e64 v12, v54, v12, s[6:7]
	v_cmp_nge_f32_e64 s[6:7], s40, v16
	v_cmp_nle_f32_e64 s[0:1], s39, v16
	v_cndmask_b32_e64 v16, v54, v16, s[6:7]
	v_cvt_i32_f32_e32 v16, v16
	v_rndne_f32_e32 v20, v67
	v_cvt_i32_f32_e32 v12, v12
	v_cmp_nge_f32_e64 s[6:7], s40, v20
	v_cmp_nle_f32_e32 vcc, s39, v20
	v_cndmask_b32_e64 v20, v54, v20, s[6:7]
	v_cvt_i32_f32_e32 v20, v20
	v_cvt_i32_f32_e32 v8, v8
	v_cndmask_b32_e64 v16, v55, v16, s[0:1]
	v_cndmask_b32_e64 v12, v55, v12, s[2:3]
	v_add_u32_e32 v16, v16, v38
	v_add_u32_e32 v66, v12, v38
	v_med3_i32 v16, v16, s41, v56
	v_med3_i32 v66, v66, s41, v56
	v_lshlrev_b16_e32 v16, 8, v16
	v_cndmask_b32_e64 v8, v55, v8, s[4:5]
	v_cndmask_b32_e32 v20, v55, v20, vcc
	v_or_b32_sdwa v16, v66, v16 dst_sel:DWORD dst_unused:UNUSED_PAD src0_sel:BYTE_0 src1_sel:DWORD
	v_lshlrev_b32_e32 v67, 16, v21
	v_lshlrev_b32_e32 v66, 16, v17
	v_add_u32_e32 v20, v20, v38
	v_add_u32_e32 v8, v8, v38
	v_pk_mul_f32 v[66:67], v[42:43], v[66:67]
	v_med3_i32 v12, v8, s41, v56
	v_med3_i32 v8, v20, s41, v56
	v_lshlrev_b32_e32 v69, 16, v13
	v_lshlrev_b32_e32 v68, 16, v9
	v_rndne_f32_e32 v20, v66
	v_pk_mul_f32 v[68:69], v[40:41], v[68:69]
	v_rndne_f32_e32 v66, v67
	v_cmp_nge_f32_e64 s[6:7], s40, v20
	v_rndne_f32_e32 v67, v68
	v_cmp_nle_f32_e64 s[4:5], s39, v20
	v_cndmask_b32_e64 v20, v54, v20, s[6:7]
	v_cmp_nge_f32_e64 s[6:7], s40, v66
	v_rndne_f32_e32 v68, v69
	v_cmp_nle_f32_e64 s[2:3], s39, v66
	v_cndmask_b32_e64 v66, v54, v66, s[6:7]
	v_cmp_nge_f32_e64 s[6:7], s40, v67
	v_cmp_nle_f32_e64 s[0:1], s39, v67
	v_cndmask_b32_e64 v67, v54, v67, s[6:7]
	v_cmp_nge_f32_e64 s[6:7], s40, v68
	v_cmp_nle_f32_e32 vcc, s39, v68
	v_cndmask_b32_e64 v68, v54, v68, s[6:7]
	v_cvt_i32_f32_e32 v68, v68
	v_cvt_i32_f32_e32 v67, v67
	;; [unrolled: 1-line block ×3, first 2 shown]
	v_lshlrev_b16_e32 v8, 8, v8
	v_cndmask_b32_e32 v68, v55, v68, vcc
	v_cndmask_b32_e64 v67, v55, v67, s[0:1]
	v_cndmask_b32_e64 v66, v55, v66, s[2:3]
	v_add_u32_e32 v68, v68, v38
	v_add_u32_e32 v67, v67, v38
	v_add_u32_e32 v66, v66, v38
	v_cvt_i32_f32_e32 v20, v20
	v_med3_i32 v72, v66, s41, v56
	v_med3_i32 v66, v67, s41, v56
	;; [unrolled: 1-line block ×3, first 2 shown]
	v_and_b32_e32 v69, 0xffff0000, v21
	v_and_b32_e32 v68, 0xffff0000, v17
	v_or_b32_sdwa v8, v70, v8 dst_sel:DWORD dst_unused:UNUSED_PAD src0_sel:BYTE_0 src1_sel:DWORD
	v_and_b32_e32 v71, 0xffff0000, v13
	v_and_b32_e32 v70, 0xffff0000, v9
	v_pk_mul_f32 v[68:69], v[42:43], v[68:69]
	v_pk_mul_f32 v[70:71], v[40:41], v[70:71]
	v_rndne_f32_e32 v9, v68
	v_rndne_f32_e32 v13, v70
	v_cmp_nge_f32_e64 s[6:7], s40, v9
	v_cndmask_b32_e64 v20, v55, v20, s[4:5]
	v_rndne_f32_e32 v17, v71
	v_cmp_nle_f32_e64 s[4:5], s39, v9
	v_cndmask_b32_e64 v9, v54, v9, s[6:7]
	v_cmp_nge_f32_e64 s[6:7], s40, v13
	v_rndne_f32_e32 v21, v69
	v_cmp_nle_f32_e64 s[2:3], s39, v13
	v_cndmask_b32_e64 v13, v54, v13, s[6:7]
	v_cmp_nge_f32_e64 s[6:7], s40, v17
	v_cmp_nle_f32_e64 s[0:1], s39, v17
	v_cndmask_b32_e64 v17, v54, v17, s[6:7]
	v_cmp_nge_f32_e64 s[6:7], s40, v21
	v_cmp_nle_f32_e32 vcc, s39, v21
	v_cndmask_b32_e64 v21, v54, v21, s[6:7]
	v_cvt_i32_f32_e32 v21, v21
	v_cvt_i32_f32_e32 v17, v17
	;; [unrolled: 1-line block ×3, first 2 shown]
	v_lshlrev_b64 v[68:69], 4, v[44:45]
	v_cndmask_b32_e32 v21, v55, v21, vcc
	v_cndmask_b32_e64 v17, v55, v17, s[0:1]
	v_add_co_u32_e32 v68, vcc, s35, v68
	v_cndmask_b32_e64 v13, v55, v13, s[2:3]
	v_add_u32_e32 v17, v17, v38
	v_addc_co_u32_e32 v69, vcc, v57, v69, vcc
	v_add_u32_e32 v13, v13, v38
	v_med3_i32 v17, v17, s41, v56
	v_add_co_u32_e32 v46, vcc, s35, v46
	v_add_u32_e32 v1, v1, v38
	v_and_b32_e32 v59, 0xffff, v59
	v_med3_i32 v13, v13, s41, v56
	v_lshlrev_b16_e32 v17, 8, v17
	v_addc_co_u32_e32 v47, vcc, v57, v47, vcc
	v_med3_i32 v1, v1, s41, v56
	v_and_b32_e32 v30, 0xffff, v30
	v_or_b32_sdwa v13, v13, v17 dst_sel:DWORD dst_unused:UNUSED_PAD src0_sel:BYTE_0 src1_sel:DWORD
	v_add_co_u32_e32 v48, vcc, s35, v48
	v_lshrrev_b32_e32 v17, 8, v59
	v_and_b32_e32 v60, 0xffff, v60
	v_addc_co_u32_e32 v49, vcc, v57, v49, vcc
	global_store_byte v[68:69], v59, off
	global_store_byte v[46:47], v17, off
	;; [unrolled: 1-line block ×3, first 2 shown]
	global_store_byte v[68:69], v30, off offset:1
	v_lshrrev_b32_e32 v1, 8, v30
	v_add_u32_e32 v34, v34, v38
	v_and_b32_e32 v31, 0xffff, v31
	global_store_byte v[46:47], v1, off offset:1
	global_store_byte v[48:49], v26, off offset:1
	global_store_byte v[68:69], v60, off offset:2
	v_lshrrev_b32_e32 v1, 8, v60
	v_med3_i32 v34, v34, s41, v56
	v_and_b32_e32 v61, 0xffff, v61
	global_store_byte v[46:47], v1, off offset:2
	global_store_byte v[48:49], v34, off offset:2
	global_store_byte v[68:69], v31, off offset:3
	v_lshrrev_b32_e32 v1, 8, v31
	v_add_u32_e32 v35, v35, v38
	v_and_b32_e32 v32, 0xffff, v32
	global_store_byte v[46:47], v1, off offset:3
	global_store_byte v[48:49], v27, off offset:3
	global_store_byte v[68:69], v61, off offset:4
	v_lshrrev_b32_e32 v1, 8, v61
	v_med3_i32 v35, v35, s41, v56
	v_and_b32_e32 v62, 0xffff, v62
	global_store_byte v[46:47], v1, off offset:4
	global_store_byte v[48:49], v35, off offset:4
	;; [unrolled: 12-line block ×3, first 2 shown]
	global_store_byte v[68:69], v33, off offset:7
	v_lshrrev_b32_e32 v1, 8, v33
	v_add_u32_e32 v37, v37, v38
	v_and_b32_e32 v14, 0xffff, v14
	global_store_byte v[46:47], v1, off offset:7
	global_store_byte v[48:49], v29, off offset:7
	;; [unrolled: 1-line block ×3, first 2 shown]
	v_lshrrev_b32_e32 v1, 8, v63
	v_med3_i32 v37, v37, s41, v56
	v_and_b32_e32 v64, 0xffff, v64
	v_cvt_i32_f32_e32 v9, v9
	global_store_byte v[46:47], v1, off offset:8
	global_store_byte v[48:49], v37, off offset:8
	;; [unrolled: 1-line block ×3, first 2 shown]
	v_lshrrev_b32_e32 v1, 8, v14
	v_add_u32_e32 v18, v18, v38
	v_and_b32_e32 v15, 0xffff, v15
	global_store_byte v[46:47], v1, off offset:9
	global_store_byte v[48:49], v10, off offset:9
	;; [unrolled: 1-line block ×3, first 2 shown]
	v_lshrrev_b32_e32 v1, 8, v64
	v_med3_i32 v18, v18, s41, v56
	v_and_b32_e32 v65, 0xffff, v65
	v_lshlrev_b16_e32 v67, 8, v67
	global_store_byte v[46:47], v1, off offset:10
	global_store_byte v[48:49], v18, off offset:10
	;; [unrolled: 1-line block ×3, first 2 shown]
	v_lshrrev_b32_e32 v1, 8, v15
	v_add_u32_e32 v19, v19, v38
	v_and_b32_e32 v16, 0xffff, v16
	v_or_b32_sdwa v66, v66, v67 dst_sel:DWORD dst_unused:UNUSED_PAD src0_sel:BYTE_0 src1_sel:DWORD
	v_add_u32_e32 v21, v21, v38
	global_store_byte v[46:47], v1, off offset:11
	global_store_byte v[48:49], v11, off offset:11
	;; [unrolled: 1-line block ×3, first 2 shown]
	v_lshrrev_b32_e32 v1, 8, v65
	v_med3_i32 v19, v19, s41, v56
	v_and_b32_e32 v66, 0xffff, v66
	v_cndmask_b32_e64 v9, v55, v9, s[4:5]
	v_med3_i32 v21, v21, s41, v56
	v_add_co_u32_e32 v50, vcc, s35, v50
	global_store_byte v[46:47], v1, off offset:12
	global_store_byte v[48:49], v19, off offset:12
	;; [unrolled: 1-line block ×3, first 2 shown]
	v_lshrrev_b32_e32 v1, 8, v16
	v_add_u32_e32 v20, v20, v38
	v_add_u32_e32 v9, v9, v38
	v_lshlrev_b16_e32 v21, 8, v21
	v_and_b32_e32 v13, 0xffff, v13
	v_addc_co_u32_e32 v51, vcc, v57, v51, vcc
	global_store_byte v[46:47], v1, off offset:13
	global_store_byte v[48:49], v12, off offset:13
	;; [unrolled: 1-line block ×3, first 2 shown]
	v_lshrrev_b32_e32 v1, 8, v66
	v_med3_i32 v20, v20, s41, v56
	v_med3_i32 v9, v9, s41, v56
	v_or_b32_sdwa v21, v72, v21 dst_sel:WORD_1 dst_unused:UNUSED_PAD src0_sel:BYTE_0 src1_sel:DWORD
	global_store_byte v[46:47], v1, off offset:14
	global_store_byte v[48:49], v20, off offset:14
	;; [unrolled: 1-line block ×3, first 2 shown]
	v_lshrrev_b32_e32 v1, 8, v13
	v_cmp_eq_u32_e32 vcc, 0, v58
	global_store_byte v[46:47], v1, off offset:15
	global_store_byte v[48:49], v9, off offset:15
	v_or_b32_sdwa v9, v8, v21 dst_sel:DWORD dst_unused:UNUSED_PAD src0_sel:WORD_0 src1_sel:DWORD
	v_or_b32_sdwa v8, v6, v7 dst_sel:DWORD dst_unused:UNUSED_PAD src0_sel:WORD_0 src1_sel:DWORD
	;; [unrolled: 1-line block ×4, first 2 shown]
	s_or_b64 s[26:27], vcc, s[26:27]
	global_store_dwordx4 v[50:51], v[6:9], off
	s_andn2_b64 exec, exec, s[26:27]
	s_cbranch_execnz .LBB11_60
; %bb.61:
	s_or_b64 exec, exec, s[26:27]
	v_cmp_ne_u32_e32 vcc, v39, v52
	v_add_u32_e32 v10, v0, v52
	s_orn2_b64 s[0:1], vcc, exec
.LBB11_62:
	s_or_b64 exec, exec, s[24:25]
	s_and_b64 exec, exec, s[0:1]
	s_cbranch_execz .LBB11_129
; %bb.63:
	s_add_u32 s0, s18, s12
	s_addc_u32 s1, s19, s13
	v_mov_b32_e32 v11, 0
	s_add_u32 s0, s14, s0
	v_lshlrev_b64 v[2:3], 4, v[10:11]
	s_addc_u32 s1, s15, s1
	s_lshl_b32 s7, s28, 4
	v_add_co_u32_e32 v12, vcc, s0, v2
	s_add_u32 s0, s8, s20
	v_mov_b32_e32 v1, s1
	s_addc_u32 s1, s9, s21
	s_add_u32 s0, s0, s10
	v_addc_co_u32_e32 v13, vcc, v1, v3, vcc
	v_lshlrev_b64 v[2:3], 5, v[10:11]
	s_addc_u32 s1, s1, s11
	s_mov_b32 s6, 0
	v_mov_b32_e32 v1, s1
	v_add_co_u32_e32 v14, vcc, s0, v2
	v_addc_co_u32_e32 v15, vcc, v1, v3, vcc
	s_lshl_b32 s24, s28, 5
	s_mov_b32 s25, s6
	s_mov_b64 s[0:1], 0
	s_mov_b32 s26, 0x4f000000
	s_mov_b32 s27, 0xcf000000
	s_movk_i32 s39, 0xff80
	v_mov_b32_e32 v1, 0x7f
	s_branch .LBB11_66
.LBB11_64:                              ;   in Loop: Header=BB11_66 Depth=1
	s_or_b64 exec, exec, s[4:5]
.LBB11_65:                              ;   in Loop: Header=BB11_66 Depth=1
	s_or_b64 exec, exec, s[2:3]
	v_add_u32_e32 v22, v22, v38
	v_add_u32_e32 v4, v4, v38
	;; [unrolled: 1-line block ×3, first 2 shown]
	v_med3_i32 v22, v22, s39, v1
	v_add_u32_e32 v3, v3, v38
	v_med3_i32 v4, v4, s39, v1
	v_med3_i32 v5, v5, s39, v1
	;; [unrolled: 1-line block ×3, first 2 shown]
	v_add_u32_e32 v21, v21, v38
	v_add_u32_e32 v20, v20, v38
	v_lshlrev_b16_e32 v22, 8, v22
	v_lshlrev_b16_e32 v4, 8, v4
	v_med3_i32 v21, v21, s39, v1
	v_add_u32_e32 v2, v2, v38
	v_med3_i32 v20, v20, s39, v1
	v_add_u32_e32 v9, v9, v38
	v_or_b32_sdwa v3, v3, v22 dst_sel:DWORD dst_unused:UNUSED_PAD src0_sel:BYTE_0 src1_sel:DWORD
	v_or_b32_sdwa v4, v5, v4 dst_sel:WORD_1 dst_unused:UNUSED_PAD src0_sel:BYTE_0 src1_sel:DWORD
	v_med3_i32 v2, v2, s39, v1
	v_med3_i32 v9, v9, s39, v1
	v_add_u32_e32 v19, v19, v38
	v_add_u32_e32 v18, v18, v38
	v_or_b32_sdwa v5, v3, v4 dst_sel:DWORD dst_unused:UNUSED_PAD src0_sel:WORD_0 src1_sel:DWORD
	v_lshlrev_b16_e32 v3, 8, v20
	v_lshlrev_b16_e32 v4, 8, v21
	v_med3_i32 v19, v19, s39, v1
	v_add_u32_e32 v8, v8, v38
	v_med3_i32 v18, v18, s39, v1
	v_add_u32_e32 v7, v7, v38
	v_or_b32_sdwa v3, v9, v3 dst_sel:DWORD dst_unused:UNUSED_PAD src0_sel:BYTE_0 src1_sel:DWORD
	v_or_b32_sdwa v2, v2, v4 dst_sel:WORD_1 dst_unused:UNUSED_PAD src0_sel:BYTE_0 src1_sel:DWORD
	v_med3_i32 v8, v8, s39, v1
	v_med3_i32 v7, v7, s39, v1
	v_add_u32_e32 v17, v17, v38
	v_add_u32_e32 v11, v11, v38
	v_or_b32_sdwa v4, v3, v2 dst_sel:DWORD dst_unused:UNUSED_PAD src0_sel:WORD_0 src1_sel:DWORD
	v_lshlrev_b16_e32 v2, 8, v18
	v_lshlrev_b16_e32 v3, 8, v19
	v_med3_i32 v17, v17, s39, v1
	v_add_u32_e32 v6, v6, v38
	v_med3_i32 v11, v11, s39, v1
	v_add_u32_e32 v16, v16, v38
	v_or_b32_sdwa v2, v7, v2 dst_sel:DWORD dst_unused:UNUSED_PAD src0_sel:BYTE_0 src1_sel:DWORD
	v_or_b32_sdwa v3, v8, v3 dst_sel:WORD_1 dst_unused:UNUSED_PAD src0_sel:BYTE_0 src1_sel:DWORD
	v_med3_i32 v6, v6, s39, v1
	v_med3_i32 v16, v16, s39, v1
	v_or_b32_sdwa v3, v2, v3 dst_sel:DWORD dst_unused:UNUSED_PAD src0_sel:WORD_0 src1_sel:DWORD
	v_lshlrev_b16_e32 v2, 8, v11
	v_lshlrev_b16_e32 v7, 8, v17
	v_or_b32_sdwa v2, v16, v2 dst_sel:DWORD dst_unused:UNUSED_PAD src0_sel:BYTE_0 src1_sel:DWORD
	v_or_b32_sdwa v6, v6, v7 dst_sel:WORD_1 dst_unused:UNUSED_PAD src0_sel:BYTE_0 src1_sel:DWORD
	v_or_b32_sdwa v2, v2, v6 dst_sel:DWORD dst_unused:UNUSED_PAD src0_sel:WORD_0 src1_sel:DWORD
	global_store_dwordx4 v[12:13], v[2:5], off
	v_add_co_u32_e32 v12, vcc, s7, v12
	v_mov_b32_e32 v2, s6
	v_add_u32_e32 v10, s28, v10
	v_addc_co_u32_e32 v13, vcc, v13, v2, vcc
	v_cmp_le_i32_e32 vcc, s38, v10
	v_mov_b32_e32 v2, s25
	s_or_b64 s[0:1], vcc, s[0:1]
	v_add_co_u32_e32 v14, vcc, s24, v14
	v_addc_co_u32_e32 v15, vcc, v15, v2, vcc
	s_andn2_b64 exec, exec, s[0:1]
	s_cbranch_execz .LBB11_129
.LBB11_66:                              ; =>This Inner Loop Header: Depth=1
	global_load_dwordx4 v[6:9], v[14:15], off
	global_load_dwordx4 v[2:5], v[14:15], off offset:16
	v_bfrev_b32_e32 v11, -2
	s_waitcnt vmcnt(1)
	v_lshlrev_b32_e32 v16, 16, v6
	v_mul_f32_e32 v16, v40, v16
	v_rndne_f32_e32 v17, v16
	v_cmp_nle_f32_e32 vcc, s26, v17
	v_bfrev_b32_e32 v16, -2
	s_and_saveexec_b64 s[2:3], vcc
	s_cbranch_execz .LBB11_70
; %bb.67:                               ;   in Loop: Header=BB11_66 Depth=1
	v_cmp_nge_f32_e32 vcc, s27, v17
	v_bfrev_b32_e32 v16, 1
	s_and_saveexec_b64 s[4:5], vcc
; %bb.68:                               ;   in Loop: Header=BB11_66 Depth=1
	v_cvt_i32_f32_e32 v16, v17
; %bb.69:                               ;   in Loop: Header=BB11_66 Depth=1
	s_or_b64 exec, exec, s[4:5]
.LBB11_70:                              ;   in Loop: Header=BB11_66 Depth=1
	s_or_b64 exec, exec, s[2:3]
	v_and_b32_e32 v6, 0xffff0000, v6
	v_mul_f32_e32 v6, v40, v6
	v_rndne_f32_e32 v6, v6
	v_cmp_nle_f32_e32 vcc, s26, v6
	s_and_saveexec_b64 s[2:3], vcc
	s_cbranch_execz .LBB11_74
; %bb.71:                               ;   in Loop: Header=BB11_66 Depth=1
	v_cmp_nge_f32_e32 vcc, s27, v6
	v_bfrev_b32_e32 v11, 1
	s_and_saveexec_b64 s[4:5], vcc
; %bb.72:                               ;   in Loop: Header=BB11_66 Depth=1
	v_cvt_i32_f32_e32 v11, v6
; %bb.73:                               ;   in Loop: Header=BB11_66 Depth=1
	s_or_b64 exec, exec, s[4:5]
.LBB11_74:                              ;   in Loop: Header=BB11_66 Depth=1
	s_or_b64 exec, exec, s[2:3]
	v_lshlrev_b32_e32 v6, 16, v7
	v_mul_f32_e32 v6, v40, v6
	v_rndne_f32_e32 v18, v6
	v_cmp_nle_f32_e32 vcc, s26, v18
	v_bfrev_b32_e32 v17, -2
	v_bfrev_b32_e32 v6, -2
	s_and_saveexec_b64 s[2:3], vcc
	s_cbranch_execz .LBB11_78
; %bb.75:                               ;   in Loop: Header=BB11_66 Depth=1
	v_cmp_nge_f32_e32 vcc, s27, v18
	v_bfrev_b32_e32 v6, 1
	s_and_saveexec_b64 s[4:5], vcc
; %bb.76:                               ;   in Loop: Header=BB11_66 Depth=1
	v_cvt_i32_f32_e32 v6, v18
; %bb.77:                               ;   in Loop: Header=BB11_66 Depth=1
	s_or_b64 exec, exec, s[4:5]
.LBB11_78:                              ;   in Loop: Header=BB11_66 Depth=1
	s_or_b64 exec, exec, s[2:3]
	v_and_b32_e32 v7, 0xffff0000, v7
	v_mul_f32_e32 v7, v40, v7
	v_rndne_f32_e32 v7, v7
	v_cmp_nle_f32_e32 vcc, s26, v7
	s_and_saveexec_b64 s[2:3], vcc
	s_cbranch_execz .LBB11_82
; %bb.79:                               ;   in Loop: Header=BB11_66 Depth=1
	v_cmp_nge_f32_e32 vcc, s27, v7
	v_bfrev_b32_e32 v17, 1
	s_and_saveexec_b64 s[4:5], vcc
; %bb.80:                               ;   in Loop: Header=BB11_66 Depth=1
	v_cvt_i32_f32_e32 v17, v7
; %bb.81:                               ;   in Loop: Header=BB11_66 Depth=1
	s_or_b64 exec, exec, s[4:5]
.LBB11_82:                              ;   in Loop: Header=BB11_66 Depth=1
	s_or_b64 exec, exec, s[2:3]
	v_lshlrev_b32_e32 v7, 16, v8
	v_mul_f32_e32 v7, v40, v7
	v_rndne_f32_e32 v19, v7
	v_cmp_nle_f32_e32 vcc, s26, v19
	v_bfrev_b32_e32 v18, -2
	;; [unrolled: 34-line block ×3, first 2 shown]
	v_bfrev_b32_e32 v8, -2
	s_and_saveexec_b64 s[2:3], vcc
	s_cbranch_execz .LBB11_94
; %bb.91:                               ;   in Loop: Header=BB11_66 Depth=1
	v_cmp_nge_f32_e32 vcc, s27, v20
	v_bfrev_b32_e32 v8, 1
	s_and_saveexec_b64 s[4:5], vcc
; %bb.92:                               ;   in Loop: Header=BB11_66 Depth=1
	v_cvt_i32_f32_e32 v8, v20
; %bb.93:                               ;   in Loop: Header=BB11_66 Depth=1
	s_or_b64 exec, exec, s[4:5]
.LBB11_94:                              ;   in Loop: Header=BB11_66 Depth=1
	s_or_b64 exec, exec, s[2:3]
	v_and_b32_e32 v9, 0xffff0000, v9
	v_mul_f32_e32 v9, v40, v9
	v_rndne_f32_e32 v9, v9
	v_cmp_nle_f32_e32 vcc, s26, v9
	s_and_saveexec_b64 s[2:3], vcc
	s_cbranch_execz .LBB11_98
; %bb.95:                               ;   in Loop: Header=BB11_66 Depth=1
	v_cmp_nge_f32_e32 vcc, s27, v9
	v_bfrev_b32_e32 v19, 1
	s_and_saveexec_b64 s[4:5], vcc
; %bb.96:                               ;   in Loop: Header=BB11_66 Depth=1
	v_cvt_i32_f32_e32 v19, v9
; %bb.97:                               ;   in Loop: Header=BB11_66 Depth=1
	s_or_b64 exec, exec, s[4:5]
.LBB11_98:                              ;   in Loop: Header=BB11_66 Depth=1
	s_or_b64 exec, exec, s[2:3]
	s_waitcnt vmcnt(0)
	v_lshlrev_b32_e32 v9, 16, v2
	v_mul_f32_e32 v9, v40, v9
	v_rndne_f32_e32 v21, v9
	v_cmp_nle_f32_e32 vcc, s26, v21
	v_bfrev_b32_e32 v20, -2
	v_bfrev_b32_e32 v9, -2
	s_and_saveexec_b64 s[2:3], vcc
	s_cbranch_execz .LBB11_102
; %bb.99:                               ;   in Loop: Header=BB11_66 Depth=1
	v_cmp_nge_f32_e32 vcc, s27, v21
	v_bfrev_b32_e32 v9, 1
	s_and_saveexec_b64 s[4:5], vcc
; %bb.100:                              ;   in Loop: Header=BB11_66 Depth=1
	v_cvt_i32_f32_e32 v9, v21
; %bb.101:                              ;   in Loop: Header=BB11_66 Depth=1
	s_or_b64 exec, exec, s[4:5]
.LBB11_102:                             ;   in Loop: Header=BB11_66 Depth=1
	s_or_b64 exec, exec, s[2:3]
	v_and_b32_e32 v2, 0xffff0000, v2
	v_mul_f32_e32 v2, v40, v2
	v_rndne_f32_e32 v2, v2
	v_cmp_nle_f32_e32 vcc, s26, v2
	s_and_saveexec_b64 s[2:3], vcc
	s_cbranch_execz .LBB11_106
; %bb.103:                              ;   in Loop: Header=BB11_66 Depth=1
	v_cmp_nge_f32_e32 vcc, s27, v2
	v_bfrev_b32_e32 v20, 1
	s_and_saveexec_b64 s[4:5], vcc
; %bb.104:                              ;   in Loop: Header=BB11_66 Depth=1
	v_cvt_i32_f32_e32 v20, v2
; %bb.105:                              ;   in Loop: Header=BB11_66 Depth=1
	s_or_b64 exec, exec, s[4:5]
.LBB11_106:                             ;   in Loop: Header=BB11_66 Depth=1
	s_or_b64 exec, exec, s[2:3]
	v_lshlrev_b32_e32 v2, 16, v3
	v_mul_f32_e32 v2, v40, v2
	v_rndne_f32_e32 v22, v2
	v_cmp_nle_f32_e32 vcc, s26, v22
	v_bfrev_b32_e32 v21, -2
	v_bfrev_b32_e32 v2, -2
	s_and_saveexec_b64 s[2:3], vcc
	s_cbranch_execz .LBB11_110
; %bb.107:                              ;   in Loop: Header=BB11_66 Depth=1
	v_cmp_nge_f32_e32 vcc, s27, v22
	v_bfrev_b32_e32 v2, 1
	s_and_saveexec_b64 s[4:5], vcc
; %bb.108:                              ;   in Loop: Header=BB11_66 Depth=1
	v_cvt_i32_f32_e32 v2, v22
; %bb.109:                              ;   in Loop: Header=BB11_66 Depth=1
	s_or_b64 exec, exec, s[4:5]
.LBB11_110:                             ;   in Loop: Header=BB11_66 Depth=1
	s_or_b64 exec, exec, s[2:3]
	v_and_b32_e32 v3, 0xffff0000, v3
	v_mul_f32_e32 v3, v40, v3
	v_rndne_f32_e32 v3, v3
	v_cmp_nle_f32_e32 vcc, s26, v3
	s_and_saveexec_b64 s[2:3], vcc
	s_cbranch_execz .LBB11_114
; %bb.111:                              ;   in Loop: Header=BB11_66 Depth=1
	v_cmp_nge_f32_e32 vcc, s27, v3
	v_bfrev_b32_e32 v21, 1
	s_and_saveexec_b64 s[4:5], vcc
; %bb.112:                              ;   in Loop: Header=BB11_66 Depth=1
	v_cvt_i32_f32_e32 v21, v3
; %bb.113:                              ;   in Loop: Header=BB11_66 Depth=1
	s_or_b64 exec, exec, s[4:5]
.LBB11_114:                             ;   in Loop: Header=BB11_66 Depth=1
	s_or_b64 exec, exec, s[2:3]
	v_lshlrev_b32_e32 v3, 16, v4
	v_mul_f32_e32 v3, v40, v3
	v_rndne_f32_e32 v23, v3
	v_cmp_nle_f32_e32 vcc, s26, v23
	v_bfrev_b32_e32 v22, -2
	v_bfrev_b32_e32 v3, -2
	s_and_saveexec_b64 s[2:3], vcc
	s_cbranch_execz .LBB11_118
; %bb.115:                              ;   in Loop: Header=BB11_66 Depth=1
	v_cmp_nge_f32_e32 vcc, s27, v23
	v_bfrev_b32_e32 v3, 1
	s_and_saveexec_b64 s[4:5], vcc
; %bb.116:                              ;   in Loop: Header=BB11_66 Depth=1
	v_cvt_i32_f32_e32 v3, v23
; %bb.117:                              ;   in Loop: Header=BB11_66 Depth=1
	s_or_b64 exec, exec, s[4:5]
.LBB11_118:                             ;   in Loop: Header=BB11_66 Depth=1
	s_or_b64 exec, exec, s[2:3]
	v_and_b32_e32 v4, 0xffff0000, v4
	v_mul_f32_e32 v4, v40, v4
	v_rndne_f32_e32 v4, v4
	v_cmp_nle_f32_e32 vcc, s26, v4
	s_and_saveexec_b64 s[2:3], vcc
	s_cbranch_execz .LBB11_122
; %bb.119:                              ;   in Loop: Header=BB11_66 Depth=1
	v_cmp_nge_f32_e32 vcc, s27, v4
	v_bfrev_b32_e32 v22, 1
	s_and_saveexec_b64 s[4:5], vcc
; %bb.120:                              ;   in Loop: Header=BB11_66 Depth=1
	v_cvt_i32_f32_e32 v22, v4
; %bb.121:                              ;   in Loop: Header=BB11_66 Depth=1
	s_or_b64 exec, exec, s[4:5]
.LBB11_122:                             ;   in Loop: Header=BB11_66 Depth=1
	s_or_b64 exec, exec, s[2:3]
	v_lshlrev_b32_e32 v4, 16, v5
	v_mul_f32_e32 v4, v40, v4
	v_rndne_f32_e32 v24, v4
	v_cmp_nle_f32_e32 vcc, s26, v24
	v_bfrev_b32_e32 v4, -2
	v_bfrev_b32_e32 v23, -2
	s_and_saveexec_b64 s[2:3], vcc
	s_cbranch_execz .LBB11_126
; %bb.123:                              ;   in Loop: Header=BB11_66 Depth=1
	v_cmp_nge_f32_e32 vcc, s27, v24
	v_bfrev_b32_e32 v23, 1
	s_and_saveexec_b64 s[4:5], vcc
; %bb.124:                              ;   in Loop: Header=BB11_66 Depth=1
	v_cvt_i32_f32_e32 v23, v24
; %bb.125:                              ;   in Loop: Header=BB11_66 Depth=1
	s_or_b64 exec, exec, s[4:5]
.LBB11_126:                             ;   in Loop: Header=BB11_66 Depth=1
	s_or_b64 exec, exec, s[2:3]
	v_and_b32_e32 v5, 0xffff0000, v5
	v_mul_f32_e32 v5, v40, v5
	v_rndne_f32_e32 v5, v5
	v_cmp_nle_f32_e32 vcc, s26, v5
	s_and_saveexec_b64 s[2:3], vcc
	s_cbranch_execz .LBB11_65
; %bb.127:                              ;   in Loop: Header=BB11_66 Depth=1
	v_cmp_nge_f32_e32 vcc, s27, v5
	v_bfrev_b32_e32 v4, 1
	s_and_saveexec_b64 s[4:5], vcc
	s_cbranch_execz .LBB11_64
; %bb.128:                              ;   in Loop: Header=BB11_66 Depth=1
	v_cvt_i32_f32_e32 v4, v5
	s_branch .LBB11_64
.LBB11_129:
	s_or_b64 exec, exec, s[22:23]
	v_lshl_add_u32 v2, s38, 4, v0
	v_cmp_gt_i32_e32 vcc, s33, v2
	s_and_saveexec_b64 s[2:3], vcc
	s_cbranch_execz .LBB11_141
; %bb.130:
	v_cvt_f32_u32_e32 v1, s28
	v_add_u32_e32 v3, s28, v2
	v_mov_b32_e32 v4, s28
	s_sub_i32 s4, 0, s28
	v_rcp_iflag_f32_e32 v1, v1
	v_cmp_gt_i32_e32 vcc, s33, v3
	v_max_i32_e32 v5, s33, v3
	v_addc_co_u32_e64 v3, s[0:1], v2, v4, vcc
	v_mul_f32_e32 v1, 0x4f7ffffe, v1
	v_cvt_u32_f32_e32 v1, v1
	v_sub_u32_e32 v3, v5, v3
	s_cmp_eq_u32 s28, 1
	v_mul_lo_u32 v4, s4, v1
	v_mul_hi_u32 v4, v1, v4
	v_add_u32_e32 v1, v1, v4
	v_mul_hi_u32 v1, v3, v1
	v_mul_lo_u32 v4, v1, s28
	v_sub_u32_e32 v3, v3, v4
	v_add_u32_e32 v5, 1, v1
	v_cmp_le_u32_e64 s[0:1], s28, v3
	v_subrev_u32_e32 v4, s28, v3
	v_cndmask_b32_e64 v1, v1, v5, s[0:1]
	v_cndmask_b32_e64 v3, v3, v4, s[0:1]
	v_add_u32_e32 v4, 1, v1
	v_cmp_le_u32_e64 s[0:1], s28, v3
	v_cndmask_b32_e64 v1, v1, v4, s[0:1]
	v_addc_co_u32_e32 v1, vcc, 1, v1, vcc
	v_cmp_lt_u32_e32 vcc, 3, v1
	s_cselect_b64 s[0:1], -1, 0
	s_and_b64 s[6:7], vcc, s[0:1]
	s_mov_b64 s[4:5], -1
	s_and_saveexec_b64 s[0:1], s[6:7]
	s_cbranch_execz .LBB11_134
; %bb.131:
	v_and_b32_e32 v3, -4, v1
	v_mov_b32_e32 v41, v40
	s_mov_b64 s[4:5], 0
	v_mov_b32_e32 v8, s37
	v_mov_b32_e32 v9, s36
	;; [unrolled: 1-line block ×4, first 2 shown]
	s_mov_b32 s6, 0x4f000000
	s_mov_b32 s7, 0xcf000000
	v_mov_b32_e32 v10, 0xcf000000
	v_bfrev_b32_e32 v11, -2
	s_movk_i32 s22, 0xff80
	v_mov_b32_e32 v12, 0x7f
	v_mov_b32_e32 v6, v2
	;; [unrolled: 1-line block ×3, first 2 shown]
.LBB11_132:                             ; =>This Inner Loop Header: Depth=1
	v_ashrrev_i32_e32 v7, 31, v6
	v_lshlrev_b64 v[14:15], 1, v[6:7]
	v_add_co_u32_e32 v14, vcc, s34, v14
	v_addc_co_u32_e32 v15, vcc, v9, v15, vcc
	global_load_dwordx2 v[14:15], v[14:15], off
	v_add_co_u32_e32 v16, vcc, s35, v6
	v_add_u32_e32 v13, -4, v13
	v_addc_co_u32_e32 v17, vcc, v8, v7, vcc
	v_cmp_eq_u32_e32 vcc, 0, v13
	s_or_b64 s[4:5], vcc, s[4:5]
	v_add_u32_e32 v6, 4, v6
	s_waitcnt vmcnt(0)
	v_and_b32_e32 v19, 0xffff0000, v15
	v_lshlrev_b32_e32 v18, 16, v15
	v_pk_mul_f32 v[18:19], v[4:5], v[18:19]
	v_and_b32_e32 v15, 0xffff0000, v14
	v_lshlrev_b32_e32 v14, 16, v14
	v_rndne_f32_e32 v7, v18
	v_pk_mul_f32 v[14:15], v[40:41], v[14:15]
	v_rndne_f32_e32 v18, v19
	v_cmp_nge_f32_e32 vcc, s7, v7
	v_rndne_f32_e32 v14, v14
	v_cndmask_b32_e32 v19, v10, v7, vcc
	v_cmp_nge_f32_e32 vcc, s7, v18
	v_rndne_f32_e32 v15, v15
	v_cndmask_b32_e32 v20, v10, v18, vcc
	v_cmp_nge_f32_e32 vcc, s7, v14
	v_cvt_i32_f32_e32 v19, v19
	v_cndmask_b32_e32 v21, v10, v14, vcc
	v_cmp_nge_f32_e32 vcc, s7, v15
	v_cvt_i32_f32_e32 v20, v20
	v_cndmask_b32_e32 v22, v10, v15, vcc
	v_cvt_i32_f32_e32 v21, v21
	v_cvt_i32_f32_e32 v22, v22
	v_cmp_nle_f32_e32 vcc, s6, v7
	v_cndmask_b32_e32 v7, v11, v19, vcc
	v_cmp_nle_f32_e32 vcc, s6, v18
	v_cndmask_b32_e32 v18, v11, v20, vcc
	;; [unrolled: 2-line block ×4, first 2 shown]
	v_add_u32_e32 v15, v15, v38
	v_add_u32_e32 v18, v18, v38
	v_add_u32_e32 v14, v14, v38
	v_add_u32_e32 v7, v7, v38
	v_med3_i32 v18, v18, s22, v12
	v_med3_i32 v15, v15, s22, v12
	;; [unrolled: 1-line block ×4, first 2 shown]
	v_lshlrev_b16_e32 v15, 8, v15
	v_lshlrev_b16_e32 v18, 8, v18
	v_or_b32_sdwa v14, v14, v15 dst_sel:DWORD dst_unused:UNUSED_PAD src0_sel:BYTE_0 src1_sel:DWORD
	v_or_b32_sdwa v7, v7, v18 dst_sel:WORD_1 dst_unused:UNUSED_PAD src0_sel:BYTE_0 src1_sel:DWORD
	v_or_b32_sdwa v7, v14, v7 dst_sel:DWORD dst_unused:UNUSED_PAD src0_sel:WORD_0 src1_sel:DWORD
	global_store_dword v[16:17], v7, off
	s_andn2_b64 exec, exec, s[4:5]
	s_cbranch_execnz .LBB11_132
; %bb.133:
	s_or_b64 exec, exec, s[4:5]
	v_cmp_ne_u32_e32 vcc, v1, v3
	v_add_u32_e32 v2, v2, v3
	s_orn2_b64 s[4:5], vcc, exec
.LBB11_134:
	s_or_b64 exec, exec, s[0:1]
	s_and_b64 exec, exec, s[4:5]
	s_cbranch_execz .LBB11_141
; %bb.135:
	s_add_u32 s0, s10, s20
	s_addc_u32 s1, s11, s21
	v_ashrrev_i32_e32 v3, 31, v2
	s_add_u32 s0, s8, s0
	v_lshlrev_b64 v[4:5], 1, v[2:3]
	s_addc_u32 s1, s9, s1
	s_lshl_b32 s20, s28, 1
	v_add_co_u32_e32 v4, vcc, s0, v4
	s_add_u32 s0, s18, s12
	v_mov_b32_e32 v1, s1
	s_addc_u32 s1, s19, s13
	s_add_u32 s0, s14, s0
	v_addc_co_u32_e32 v5, vcc, v1, v5, vcc
	s_addc_u32 s1, s15, s1
	s_mov_b32 s4, 0
	v_mov_b32_e32 v6, s1
	v_add_co_u32_e32 v1, vcc, s0, v2
	v_addc_co_u32_e32 v3, vcc, v6, v3, vcc
	s_mov_b64 s[0:1], 0
	s_mov_b32 s21, 0x4f000000
	s_mov_b32 s22, 0xcf000000
	s_movk_i32 s23, 0xff80
	v_mov_b32_e32 v6, 0x7f
	v_mov_b32_e32 v7, s4
	s_mov_b64 s[4:5], 0
	s_branch .LBB11_138
.LBB11_136:                             ;   in Loop: Header=BB11_138 Depth=1
	s_or_b64 exec, exec, s[18:19]
.LBB11_137:                             ;   in Loop: Header=BB11_138 Depth=1
	s_or_b64 exec, exec, s[6:7]
	v_mov_b32_e32 v9, s5
	v_add_co_u32_e32 v10, vcc, s4, v1
	v_add_u32_e32 v8, v8, v38
	v_addc_co_u32_e32 v11, vcc, v3, v9, vcc
	v_med3_i32 v8, v8, s23, v6
	s_add_u32 s4, s4, s28
	global_store_byte v[10:11], v8, off
	v_add_u32_e32 v8, s4, v2
	s_addc_u32 s5, s5, 0
	v_cmp_le_i32_e32 vcc, s33, v8
	s_or_b64 s[0:1], vcc, s[0:1]
	v_add_co_u32_e32 v4, vcc, s20, v4
	v_addc_co_u32_e32 v5, vcc, v5, v7, vcc
	s_andn2_b64 exec, exec, s[0:1]
	s_cbranch_execz .LBB11_141
.LBB11_138:                             ; =>This Inner Loop Header: Depth=1
	global_load_ushort v8, v[4:5], off
	s_waitcnt vmcnt(0)
	v_lshlrev_b32_e32 v8, 16, v8
	v_mul_f32_e32 v8, v40, v8
	v_rndne_f32_e32 v9, v8
	v_cmp_nle_f32_e32 vcc, s21, v9
	v_bfrev_b32_e32 v8, -2
	s_and_saveexec_b64 s[6:7], vcc
	s_cbranch_execz .LBB11_137
; %bb.139:                              ;   in Loop: Header=BB11_138 Depth=1
	v_cmp_nge_f32_e32 vcc, s22, v9
	v_bfrev_b32_e32 v8, 1
	s_and_saveexec_b64 s[18:19], vcc
	s_cbranch_execz .LBB11_136
; %bb.140:                              ;   in Loop: Header=BB11_138 Depth=1
	v_cvt_i32_f32_e32 v8, v9
	s_branch .LBB11_136
.LBB11_141:
	s_or_b64 exec, exec, s[2:3]
	s_mov_b64 s[2:3], 0
.LBB11_142:
	s_and_b64 vcc, exec, s[2:3]
	s_cbranch_vccz .LBB11_215
; %bb.143:
	s_ashr_i32 s22, s31, 4
	v_cmp_gt_i32_e32 vcc, s22, v0
	s_and_saveexec_b64 s[0:1], vcc
	s_cbranch_execz .LBB11_215
; %bb.144:
	v_cvt_f32_u32_e32 v1, s28
	v_add_u32_e32 v2, s28, v0
	v_mov_b32_e32 v3, s28
	s_sub_i32 s2, 0, s28
	v_rcp_iflag_f32_e32 v1, v1
	v_cmp_gt_i32_e32 vcc, s22, v2
	v_max_i32_e32 v4, s22, v2
	v_addc_co_u32_e64 v2, s[0:1], v0, v3, vcc
	v_mul_f32_e32 v1, 0x4f7ffffe, v1
	v_cvt_u32_f32_e32 v1, v1
	v_sub_u32_e32 v2, v4, v2
	s_cmp_eq_u32 s28, 1
	v_mul_lo_u32 v3, s2, v1
	v_mul_hi_u32 v3, v1, v3
	v_add_u32_e32 v1, v1, v3
	v_mul_hi_u32 v1, v2, v1
	v_mul_lo_u32 v3, v1, s28
	v_sub_u32_e32 v2, v2, v3
	v_add_u32_e32 v4, 1, v1
	v_cmp_le_u32_e64 s[0:1], s28, v2
	v_subrev_u32_e32 v3, s28, v2
	v_cndmask_b32_e64 v1, v1, v4, s[0:1]
	v_cndmask_b32_e64 v2, v2, v3, s[0:1]
	v_add_u32_e32 v3, 1, v1
	v_cmp_le_u32_e64 s[0:1], s28, v2
	v_cndmask_b32_e64 v1, v1, v3, s[0:1]
	v_addc_co_u32_e32 v39, vcc, 1, v1, vcc
	v_cmp_lt_u32_e32 vcc, 3, v39
	s_cselect_b64 s[0:1], -1, 0
	s_and_b64 s[2:3], vcc, s[0:1]
	s_mov_b64 s[0:1], -1
	s_and_saveexec_b64 s[18:19], s[2:3]
	s_cbranch_execz .LBB11_148
; %bb.145:
	v_add_u32_e32 v3, 3, v0
	v_add_u32_e32 v2, 2, v0
	v_and_b32_e32 v52, -4, v39
	v_add_u32_e32 v1, 1, v0
	v_pk_mov_b32 v[4:5], v[2:3], v[2:3] op_sel:[0,1]
	v_mov_b32_e32 v41, v40
	s_mov_b64 s[20:21], 0
	v_mov_b32_e32 v53, s30
	v_mov_b32_e32 v42, v40
	;; [unrolled: 1-line block ×3, first 2 shown]
	s_mov_b32 s23, 0x4f000000
	s_mov_b32 s24, 0xcf000000
	v_mov_b32_e32 v54, 0xcf000000
	v_bfrev_b32_e32 v55, -2
	s_movk_i32 s25, 0xff80
	v_mov_b32_e32 v56, 0x7f
	v_mov_b32_e32 v57, s17
	v_mov_b32_e32 v45, 0
	v_mov_b32_e32 v58, v52
	v_pk_mov_b32 v[2:3], v[0:1], v[0:1] op_sel:[0,1]
.LBB11_146:                             ; =>This Inner Loop Header: Depth=1
	v_mov_b32_e32 v44, v2
	v_lshlrev_b64 v[6:7], 5, v[44:45]
	v_add_co_u32_e32 v18, vcc, s29, v6
	v_mov_b32_e32 v46, v3
	v_mov_b32_e32 v47, v45
	v_addc_co_u32_e32 v19, vcc, v53, v7, vcc
	v_lshlrev_b64 v[6:7], 5, v[46:47]
	v_add_co_u32_e32 v20, vcc, s29, v6
	v_mov_b32_e32 v48, v4
	v_mov_b32_e32 v49, v45
	v_addc_co_u32_e32 v21, vcc, v53, v7, vcc
	;; [unrolled: 5-line block ×3, first 2 shown]
	v_lshlrev_b64 v[6:7], 5, v[50:51]
	v_add_co_u32_e32 v62, vcc, s29, v6
	v_addc_co_u32_e32 v63, vcc, v53, v7, vcc
	global_load_dwordx4 v[22:25], v[18:19], off
	global_load_dwordx4 v[26:29], v[20:21], off
	;; [unrolled: 1-line block ×4, first 2 shown]
	global_load_dwordx4 v[6:9], v[18:19], off offset:16
	global_load_dwordx4 v[10:13], v[20:21], off offset:16
	;; [unrolled: 1-line block ×3, first 2 shown]
                                        ; kill: killed $vgpr18 killed $vgpr19
                                        ; kill: killed $vgpr60 killed $vgpr61
                                        ; kill: killed $vgpr20 killed $vgpr21
	s_nop 0
	global_load_dwordx4 v[18:21], v[62:63], off offset:16
	v_lshlrev_b64 v[46:47], 4, v[46:47]
	v_lshlrev_b64 v[48:49], 4, v[48:49]
	v_lshlrev_b64 v[50:51], 4, v[50:51]
	v_add_u32_e32 v58, -4, v58
	v_add_u32_e32 v5, 4, v5
	v_add_u32_e32 v4, 4, v4
	;; [unrolled: 1-line block ×4, first 2 shown]
	s_waitcnt vmcnt(7)
	v_lshlrev_b32_e32 v62, 16, v22
	s_waitcnt vmcnt(6)
	v_lshlrev_b32_e32 v63, 16, v26
	;; [unrolled: 2-line block ×4, first 2 shown]
	v_pk_mul_f32 v[60:61], v[42:43], v[60:61]
	v_rndne_f32_e32 v1, v60
	v_pk_mul_f32 v[62:63], v[40:41], v[62:63]
	v_rndne_f32_e32 v59, v61
	v_cmp_nge_f32_e64 s[6:7], s24, v1
	v_rndne_f32_e32 v60, v62
	v_cmp_nle_f32_e64 s[4:5], s23, v1
	v_cndmask_b32_e64 v1, v54, v1, s[6:7]
	v_cmp_nge_f32_e64 s[6:7], s24, v59
	v_rndne_f32_e32 v61, v63
	v_cmp_nle_f32_e64 s[2:3], s23, v59
	v_cndmask_b32_e64 v59, v54, v59, s[6:7]
	v_cmp_nge_f32_e64 s[6:7], s24, v60
	v_cmp_nle_f32_e64 s[0:1], s23, v60
	v_cndmask_b32_e64 v60, v54, v60, s[6:7]
	v_cmp_nge_f32_e64 s[6:7], s24, v61
	v_cmp_nle_f32_e32 vcc, s23, v61
	v_cndmask_b32_e64 v61, v54, v61, s[6:7]
	v_cvt_i32_f32_e32 v61, v61
	v_cvt_i32_f32_e32 v60, v60
	;; [unrolled: 1-line block ×4, first 2 shown]
	v_cndmask_b32_e32 v61, v55, v61, vcc
	v_cndmask_b32_e64 v60, v55, v60, s[0:1]
	v_cndmask_b32_e64 v59, v55, v59, s[2:3]
	v_add_u32_e32 v61, v61, v38
	v_add_u32_e32 v60, v60, v38
	;; [unrolled: 1-line block ×3, first 2 shown]
	v_med3_i32 v64, v59, s25, v56
	v_med3_i32 v59, v60, s25, v56
	;; [unrolled: 1-line block ×3, first 2 shown]
	v_lshlrev_b16_e32 v60, 8, v60
	v_or_b32_sdwa v59, v59, v60 dst_sel:DWORD dst_unused:UNUSED_PAD src0_sel:BYTE_0 src1_sel:DWORD
	v_and_b32_e32 v61, 0xffff0000, v34
	v_and_b32_e32 v60, 0xffff0000, v30
	;; [unrolled: 1-line block ×4, first 2 shown]
	v_pk_mul_f32 v[60:61], v[42:43], v[60:61]
	v_pk_mul_f32 v[62:63], v[40:41], v[62:63]
	v_rndne_f32_e32 v22, v60
	v_rndne_f32_e32 v26, v62
	v_cmp_nge_f32_e64 s[6:7], s24, v22
	v_cndmask_b32_e64 v1, v55, v1, s[4:5]
	v_rndne_f32_e32 v30, v63
	v_cmp_nle_f32_e64 s[4:5], s23, v22
	v_cndmask_b32_e64 v22, v54, v22, s[6:7]
	v_cmp_nge_f32_e64 s[6:7], s24, v26
	v_cmp_nle_f32_e64 s[2:3], s23, v26
	v_cndmask_b32_e64 v26, v54, v26, s[6:7]
	v_cmp_nge_f32_e64 s[6:7], s24, v30
	v_cmp_nle_f32_e64 s[0:1], s23, v30
	v_cndmask_b32_e64 v30, v54, v30, s[6:7]
	v_cvt_i32_f32_e32 v30, v30
	v_rndne_f32_e32 v34, v61
	v_cvt_i32_f32_e32 v26, v26
	v_cmp_nge_f32_e64 s[6:7], s24, v34
	v_cmp_nle_f32_e32 vcc, s23, v34
	v_cndmask_b32_e64 v34, v54, v34, s[6:7]
	v_cvt_i32_f32_e32 v34, v34
	v_cvt_i32_f32_e32 v22, v22
	v_cndmask_b32_e64 v30, v55, v30, s[0:1]
	v_cndmask_b32_e64 v26, v55, v26, s[2:3]
	v_add_u32_e32 v30, v30, v38
	v_add_u32_e32 v60, v26, v38
	v_med3_i32 v30, v30, s25, v56
	v_med3_i32 v60, v60, s25, v56
	v_lshlrev_b16_e32 v30, 8, v30
	v_cndmask_b32_e64 v22, v55, v22, s[4:5]
	v_cndmask_b32_e32 v34, v55, v34, vcc
	v_or_b32_sdwa v30, v60, v30 dst_sel:DWORD dst_unused:UNUSED_PAD src0_sel:BYTE_0 src1_sel:DWORD
	v_lshlrev_b32_e32 v61, 16, v35
	v_lshlrev_b32_e32 v60, 16, v31
	v_add_u32_e32 v34, v34, v38
	v_add_u32_e32 v22, v22, v38
	v_pk_mul_f32 v[60:61], v[42:43], v[60:61]
	v_med3_i32 v26, v22, s25, v56
	v_med3_i32 v22, v34, s25, v56
	v_lshlrev_b32_e32 v63, 16, v27
	v_lshlrev_b32_e32 v62, 16, v23
	v_rndne_f32_e32 v34, v60
	v_pk_mul_f32 v[62:63], v[40:41], v[62:63]
	v_rndne_f32_e32 v60, v61
	v_cmp_nge_f32_e64 s[6:7], s24, v34
	v_rndne_f32_e32 v61, v62
	v_cmp_nle_f32_e64 s[4:5], s23, v34
	v_cndmask_b32_e64 v34, v54, v34, s[6:7]
	v_cmp_nge_f32_e64 s[6:7], s24, v60
	v_rndne_f32_e32 v62, v63
	v_cmp_nle_f32_e64 s[2:3], s23, v60
	v_cndmask_b32_e64 v60, v54, v60, s[6:7]
	v_cmp_nge_f32_e64 s[6:7], s24, v61
	v_cmp_nle_f32_e64 s[0:1], s23, v61
	v_cndmask_b32_e64 v61, v54, v61, s[6:7]
	v_cmp_nge_f32_e64 s[6:7], s24, v62
	v_cmp_nle_f32_e32 vcc, s23, v62
	v_cndmask_b32_e64 v62, v54, v62, s[6:7]
	v_cvt_i32_f32_e32 v62, v62
	v_cvt_i32_f32_e32 v61, v61
	;; [unrolled: 1-line block ×3, first 2 shown]
	v_lshlrev_b16_e32 v22, 8, v22
	v_cndmask_b32_e32 v62, v55, v62, vcc
	v_cndmask_b32_e64 v61, v55, v61, s[0:1]
	v_cndmask_b32_e64 v60, v55, v60, s[2:3]
	v_add_u32_e32 v62, v62, v38
	v_add_u32_e32 v61, v61, v38
	;; [unrolled: 1-line block ×3, first 2 shown]
	v_cvt_i32_f32_e32 v34, v34
	v_med3_i32 v66, v60, s25, v56
	v_med3_i32 v60, v61, s25, v56
	;; [unrolled: 1-line block ×3, first 2 shown]
	v_and_b32_e32 v63, 0xffff0000, v35
	v_and_b32_e32 v62, 0xffff0000, v31
	v_or_b32_sdwa v22, v64, v22 dst_sel:DWORD dst_unused:UNUSED_PAD src0_sel:BYTE_0 src1_sel:DWORD
	v_and_b32_e32 v65, 0xffff0000, v27
	v_and_b32_e32 v64, 0xffff0000, v23
	v_pk_mul_f32 v[62:63], v[42:43], v[62:63]
	v_pk_mul_f32 v[64:65], v[40:41], v[64:65]
	v_rndne_f32_e32 v23, v62
	v_rndne_f32_e32 v27, v64
	v_cmp_nge_f32_e64 s[6:7], s24, v23
	v_cndmask_b32_e64 v34, v55, v34, s[4:5]
	v_rndne_f32_e32 v31, v65
	v_cmp_nle_f32_e64 s[4:5], s23, v23
	v_cndmask_b32_e64 v23, v54, v23, s[6:7]
	v_cmp_nge_f32_e64 s[6:7], s24, v27
	v_rndne_f32_e32 v35, v63
	v_cmp_nle_f32_e64 s[2:3], s23, v27
	v_cndmask_b32_e64 v27, v54, v27, s[6:7]
	v_cmp_nge_f32_e64 s[6:7], s24, v31
	v_cmp_nle_f32_e64 s[0:1], s23, v31
	v_cndmask_b32_e64 v31, v54, v31, s[6:7]
	v_cmp_nge_f32_e64 s[6:7], s24, v35
	v_cmp_nle_f32_e32 vcc, s23, v35
	v_cndmask_b32_e64 v35, v54, v35, s[6:7]
	v_cvt_i32_f32_e32 v31, v31
	v_cvt_i32_f32_e32 v35, v35
	;; [unrolled: 1-line block ×4, first 2 shown]
	v_cndmask_b32_e64 v31, v55, v31, s[0:1]
	v_lshlrev_b16_e32 v61, 8, v61
	v_cndmask_b32_e64 v27, v55, v27, s[2:3]
	v_cndmask_b32_e64 v23, v55, v23, s[4:5]
	v_cndmask_b32_e32 v35, v55, v35, vcc
	v_add_u32_e32 v31, v31, v38
	v_lshlrev_b32_e32 v63, 16, v36
	v_lshlrev_b32_e32 v62, 16, v32
	v_or_b32_sdwa v60, v60, v61 dst_sel:DWORD dst_unused:UNUSED_PAD src0_sel:BYTE_0 src1_sel:DWORD
	v_add_u32_e32 v35, v35, v38
	v_add_u32_e32 v61, v27, v38
	v_add_u32_e32 v23, v23, v38
	v_med3_i32 v31, v31, s25, v56
	v_pk_mul_f32 v[62:63], v[42:43], v[62:63]
	v_med3_i32 v27, v23, s25, v56
	v_med3_i32 v61, v61, s25, v56
	;; [unrolled: 1-line block ×3, first 2 shown]
	v_lshlrev_b16_e32 v31, 8, v31
	v_lshlrev_b32_e32 v65, 16, v28
	v_lshlrev_b32_e32 v64, 16, v24
	v_rndne_f32_e32 v35, v62
	v_or_b32_sdwa v31, v61, v31 dst_sel:DWORD dst_unused:UNUSED_PAD src0_sel:BYTE_0 src1_sel:DWORD
	v_pk_mul_f32 v[64:65], v[40:41], v[64:65]
	v_rndne_f32_e32 v61, v63
	v_cmp_nge_f32_e64 s[6:7], s24, v35
	v_rndne_f32_e32 v62, v64
	v_cmp_nle_f32_e64 s[4:5], s23, v35
	v_cndmask_b32_e64 v35, v54, v35, s[6:7]
	v_cmp_nge_f32_e64 s[6:7], s24, v61
	v_rndne_f32_e32 v63, v65
	v_cmp_nle_f32_e64 s[2:3], s23, v61
	v_cndmask_b32_e64 v61, v54, v61, s[6:7]
	v_cmp_nge_f32_e64 s[6:7], s24, v62
	v_cmp_nle_f32_e64 s[0:1], s23, v62
	v_cndmask_b32_e64 v62, v54, v62, s[6:7]
	v_cmp_nge_f32_e64 s[6:7], s24, v63
	v_cmp_nle_f32_e32 vcc, s23, v63
	v_cndmask_b32_e64 v63, v54, v63, s[6:7]
	v_cvt_i32_f32_e32 v63, v63
	v_cvt_i32_f32_e32 v62, v62
	;; [unrolled: 1-line block ×3, first 2 shown]
	v_lshlrev_b16_e32 v23, 8, v23
	v_cndmask_b32_e32 v63, v55, v63, vcc
	v_cndmask_b32_e64 v62, v55, v62, s[0:1]
	v_cndmask_b32_e64 v61, v55, v61, s[2:3]
	v_add_u32_e32 v63, v63, v38
	v_add_u32_e32 v62, v62, v38
	v_add_u32_e32 v61, v61, v38
	v_or_b32_sdwa v23, v66, v23 dst_sel:WORD_1 dst_unused:UNUSED_PAD src0_sel:BYTE_0 src1_sel:DWORD
	v_med3_i32 v66, v61, s25, v56
	v_med3_i32 v61, v62, s25, v56
	;; [unrolled: 1-line block ×3, first 2 shown]
	v_lshlrev_b16_e32 v62, 8, v62
	v_cvt_i32_f32_e32 v35, v35
	v_or_b32_sdwa v61, v61, v62 dst_sel:DWORD dst_unused:UNUSED_PAD src0_sel:BYTE_0 src1_sel:DWORD
	v_and_b32_e32 v63, 0xffff0000, v36
	v_and_b32_e32 v62, 0xffff0000, v32
	;; [unrolled: 1-line block ×4, first 2 shown]
	v_pk_mul_f32 v[62:63], v[42:43], v[62:63]
	v_pk_mul_f32 v[64:65], v[40:41], v[64:65]
	v_rndne_f32_e32 v24, v62
	v_rndne_f32_e32 v28, v64
	v_cmp_nge_f32_e64 s[6:7], s24, v24
	v_cndmask_b32_e64 v35, v55, v35, s[4:5]
	v_rndne_f32_e32 v32, v65
	v_cmp_nle_f32_e64 s[4:5], s23, v24
	v_cndmask_b32_e64 v24, v54, v24, s[6:7]
	v_cmp_nge_f32_e64 s[6:7], s24, v28
	v_cmp_nle_f32_e64 s[2:3], s23, v28
	v_cndmask_b32_e64 v28, v54, v28, s[6:7]
	v_cmp_nge_f32_e64 s[6:7], s24, v32
	v_cmp_nle_f32_e64 s[0:1], s23, v32
	v_cndmask_b32_e64 v32, v54, v32, s[6:7]
	v_cvt_i32_f32_e32 v32, v32
	v_rndne_f32_e32 v36, v63
	v_cvt_i32_f32_e32 v28, v28
	v_cmp_nge_f32_e64 s[6:7], s24, v36
	v_cmp_nle_f32_e32 vcc, s23, v36
	v_cndmask_b32_e64 v36, v54, v36, s[6:7]
	v_cvt_i32_f32_e32 v36, v36
	v_cvt_i32_f32_e32 v24, v24
	v_cndmask_b32_e64 v32, v55, v32, s[0:1]
	v_cndmask_b32_e64 v28, v55, v28, s[2:3]
	v_add_u32_e32 v32, v32, v38
	v_add_u32_e32 v62, v28, v38
	v_med3_i32 v32, v32, s25, v56
	v_med3_i32 v62, v62, s25, v56
	v_lshlrev_b16_e32 v32, 8, v32
	v_cndmask_b32_e64 v24, v55, v24, s[4:5]
	v_cndmask_b32_e32 v36, v55, v36, vcc
	v_or_b32_sdwa v32, v62, v32 dst_sel:DWORD dst_unused:UNUSED_PAD src0_sel:BYTE_0 src1_sel:DWORD
	v_lshlrev_b32_e32 v63, 16, v37
	v_lshlrev_b32_e32 v62, 16, v33
	v_add_u32_e32 v36, v36, v38
	v_add_u32_e32 v24, v24, v38
	v_pk_mul_f32 v[62:63], v[42:43], v[62:63]
	v_med3_i32 v28, v24, s25, v56
	v_med3_i32 v24, v36, s25, v56
	v_lshlrev_b32_e32 v65, 16, v29
	v_lshlrev_b32_e32 v64, 16, v25
	v_rndne_f32_e32 v36, v62
	v_pk_mul_f32 v[64:65], v[40:41], v[64:65]
	v_rndne_f32_e32 v62, v63
	v_cmp_nge_f32_e64 s[6:7], s24, v36
	v_rndne_f32_e32 v63, v64
	v_cmp_nle_f32_e64 s[4:5], s23, v36
	v_cndmask_b32_e64 v36, v54, v36, s[6:7]
	v_cmp_nge_f32_e64 s[6:7], s24, v62
	v_rndne_f32_e32 v64, v65
	v_cmp_nle_f32_e64 s[2:3], s23, v62
	v_cndmask_b32_e64 v62, v54, v62, s[6:7]
	v_cmp_nge_f32_e64 s[6:7], s24, v63
	v_cmp_nle_f32_e64 s[0:1], s23, v63
	v_cndmask_b32_e64 v63, v54, v63, s[6:7]
	v_cmp_nge_f32_e64 s[6:7], s24, v64
	v_cmp_nle_f32_e32 vcc, s23, v64
	v_cndmask_b32_e64 v64, v54, v64, s[6:7]
	v_cvt_i32_f32_e32 v64, v64
	v_cvt_i32_f32_e32 v63, v63
	;; [unrolled: 1-line block ×3, first 2 shown]
	v_lshlrev_b16_e32 v24, 8, v24
	v_cndmask_b32_e32 v64, v55, v64, vcc
	v_cndmask_b32_e64 v63, v55, v63, s[0:1]
	v_cndmask_b32_e64 v62, v55, v62, s[2:3]
	v_add_u32_e32 v64, v64, v38
	v_add_u32_e32 v63, v63, v38
	;; [unrolled: 1-line block ×3, first 2 shown]
	v_cvt_i32_f32_e32 v36, v36
	v_med3_i32 v68, v62, s25, v56
	v_med3_i32 v62, v63, s25, v56
	;; [unrolled: 1-line block ×3, first 2 shown]
	v_and_b32_e32 v65, 0xffff0000, v37
	v_and_b32_e32 v64, 0xffff0000, v33
	v_or_b32_sdwa v24, v66, v24 dst_sel:DWORD dst_unused:UNUSED_PAD src0_sel:BYTE_0 src1_sel:DWORD
	v_and_b32_e32 v67, 0xffff0000, v29
	v_and_b32_e32 v66, 0xffff0000, v25
	v_pk_mul_f32 v[64:65], v[42:43], v[64:65]
	v_pk_mul_f32 v[66:67], v[40:41], v[66:67]
	v_rndne_f32_e32 v25, v64
	v_rndne_f32_e32 v29, v66
	v_cmp_nge_f32_e64 s[6:7], s24, v25
	v_cndmask_b32_e64 v36, v55, v36, s[4:5]
	v_rndne_f32_e32 v33, v67
	v_cmp_nle_f32_e64 s[4:5], s23, v25
	v_cndmask_b32_e64 v25, v54, v25, s[6:7]
	v_cmp_nge_f32_e64 s[6:7], s24, v29
	v_rndne_f32_e32 v37, v65
	v_cmp_nle_f32_e64 s[2:3], s23, v29
	v_cndmask_b32_e64 v29, v54, v29, s[6:7]
	v_cmp_nge_f32_e64 s[6:7], s24, v33
	v_cmp_nle_f32_e64 s[0:1], s23, v33
	v_cndmask_b32_e64 v33, v54, v33, s[6:7]
	v_cmp_nge_f32_e64 s[6:7], s24, v37
	v_cmp_nle_f32_e32 vcc, s23, v37
	v_cndmask_b32_e64 v37, v54, v37, s[6:7]
	v_cvt_i32_f32_e32 v33, v33
	v_cvt_i32_f32_e32 v37, v37
	;; [unrolled: 1-line block ×4, first 2 shown]
	v_cndmask_b32_e64 v33, v55, v33, s[0:1]
	v_lshlrev_b16_e32 v63, 8, v63
	v_cndmask_b32_e64 v29, v55, v29, s[2:3]
	v_cndmask_b32_e64 v25, v55, v25, s[4:5]
	v_cndmask_b32_e32 v37, v55, v37, vcc
	v_add_u32_e32 v33, v33, v38
	s_waitcnt vmcnt(0)
	v_lshlrev_b32_e32 v65, 16, v18
	v_lshlrev_b32_e32 v64, 16, v14
	v_or_b32_sdwa v62, v62, v63 dst_sel:DWORD dst_unused:UNUSED_PAD src0_sel:BYTE_0 src1_sel:DWORD
	v_add_u32_e32 v37, v37, v38
	v_add_u32_e32 v63, v29, v38
	;; [unrolled: 1-line block ×3, first 2 shown]
	v_med3_i32 v33, v33, s25, v56
	v_pk_mul_f32 v[64:65], v[42:43], v[64:65]
	v_med3_i32 v29, v25, s25, v56
	v_med3_i32 v63, v63, s25, v56
	;; [unrolled: 1-line block ×3, first 2 shown]
	v_lshlrev_b16_e32 v33, 8, v33
	v_lshlrev_b32_e32 v67, 16, v10
	v_lshlrev_b32_e32 v66, 16, v6
	v_rndne_f32_e32 v37, v64
	v_or_b32_sdwa v33, v63, v33 dst_sel:DWORD dst_unused:UNUSED_PAD src0_sel:BYTE_0 src1_sel:DWORD
	v_pk_mul_f32 v[66:67], v[40:41], v[66:67]
	v_rndne_f32_e32 v63, v65
	v_cmp_nge_f32_e64 s[6:7], s24, v37
	v_rndne_f32_e32 v64, v66
	v_cmp_nle_f32_e64 s[4:5], s23, v37
	v_cndmask_b32_e64 v37, v54, v37, s[6:7]
	v_cmp_nge_f32_e64 s[6:7], s24, v63
	v_rndne_f32_e32 v65, v67
	v_cmp_nle_f32_e64 s[2:3], s23, v63
	v_cndmask_b32_e64 v63, v54, v63, s[6:7]
	v_cmp_nge_f32_e64 s[6:7], s24, v64
	v_cmp_nle_f32_e64 s[0:1], s23, v64
	v_cndmask_b32_e64 v64, v54, v64, s[6:7]
	v_cmp_nge_f32_e64 s[6:7], s24, v65
	v_cmp_nle_f32_e32 vcc, s23, v65
	v_cndmask_b32_e64 v65, v54, v65, s[6:7]
	v_cvt_i32_f32_e32 v65, v65
	v_cvt_i32_f32_e32 v64, v64
	;; [unrolled: 1-line block ×3, first 2 shown]
	v_lshlrev_b16_e32 v25, 8, v25
	v_cndmask_b32_e32 v65, v55, v65, vcc
	v_cndmask_b32_e64 v64, v55, v64, s[0:1]
	v_cndmask_b32_e64 v63, v55, v63, s[2:3]
	v_add_u32_e32 v65, v65, v38
	v_add_u32_e32 v64, v64, v38
	;; [unrolled: 1-line block ×3, first 2 shown]
	v_or_b32_sdwa v25, v68, v25 dst_sel:WORD_1 dst_unused:UNUSED_PAD src0_sel:BYTE_0 src1_sel:DWORD
	v_med3_i32 v68, v63, s25, v56
	v_med3_i32 v63, v64, s25, v56
	;; [unrolled: 1-line block ×3, first 2 shown]
	v_lshlrev_b16_e32 v64, 8, v64
	v_cvt_i32_f32_e32 v37, v37
	v_or_b32_sdwa v63, v63, v64 dst_sel:DWORD dst_unused:UNUSED_PAD src0_sel:BYTE_0 src1_sel:DWORD
	v_and_b32_e32 v65, 0xffff0000, v18
	v_and_b32_e32 v64, 0xffff0000, v14
	;; [unrolled: 1-line block ×4, first 2 shown]
	v_pk_mul_f32 v[64:65], v[42:43], v[64:65]
	v_pk_mul_f32 v[66:67], v[40:41], v[66:67]
	v_rndne_f32_e32 v6, v64
	v_rndne_f32_e32 v10, v66
	v_cmp_nge_f32_e64 s[6:7], s24, v6
	v_cndmask_b32_e64 v37, v55, v37, s[4:5]
	v_rndne_f32_e32 v14, v67
	v_cmp_nle_f32_e64 s[4:5], s23, v6
	v_cndmask_b32_e64 v6, v54, v6, s[6:7]
	v_cmp_nge_f32_e64 s[6:7], s24, v10
	v_cmp_nle_f32_e64 s[2:3], s23, v10
	v_cndmask_b32_e64 v10, v54, v10, s[6:7]
	v_cmp_nge_f32_e64 s[6:7], s24, v14
	v_cmp_nle_f32_e64 s[0:1], s23, v14
	v_cndmask_b32_e64 v14, v54, v14, s[6:7]
	v_cvt_i32_f32_e32 v14, v14
	v_rndne_f32_e32 v18, v65
	v_cvt_i32_f32_e32 v10, v10
	v_cmp_nge_f32_e64 s[6:7], s24, v18
	v_cmp_nle_f32_e32 vcc, s23, v18
	v_cndmask_b32_e64 v18, v54, v18, s[6:7]
	v_cvt_i32_f32_e32 v18, v18
	v_cvt_i32_f32_e32 v6, v6
	v_cndmask_b32_e64 v14, v55, v14, s[0:1]
	v_cndmask_b32_e64 v10, v55, v10, s[2:3]
	v_add_u32_e32 v14, v14, v38
	v_add_u32_e32 v64, v10, v38
	v_med3_i32 v14, v14, s25, v56
	v_med3_i32 v64, v64, s25, v56
	v_lshlrev_b16_e32 v14, 8, v14
	v_cndmask_b32_e64 v6, v55, v6, s[4:5]
	v_cndmask_b32_e32 v18, v55, v18, vcc
	v_or_b32_sdwa v14, v64, v14 dst_sel:DWORD dst_unused:UNUSED_PAD src0_sel:BYTE_0 src1_sel:DWORD
	v_lshlrev_b32_e32 v65, 16, v19
	v_lshlrev_b32_e32 v64, 16, v15
	v_add_u32_e32 v18, v18, v38
	v_add_u32_e32 v6, v6, v38
	v_pk_mul_f32 v[64:65], v[42:43], v[64:65]
	v_med3_i32 v10, v6, s25, v56
	v_med3_i32 v6, v18, s25, v56
	v_lshlrev_b32_e32 v67, 16, v11
	v_lshlrev_b32_e32 v66, 16, v7
	v_rndne_f32_e32 v18, v64
	v_pk_mul_f32 v[66:67], v[40:41], v[66:67]
	v_rndne_f32_e32 v64, v65
	v_cmp_nge_f32_e64 s[6:7], s24, v18
	v_rndne_f32_e32 v65, v66
	v_cmp_nle_f32_e64 s[4:5], s23, v18
	v_cndmask_b32_e64 v18, v54, v18, s[6:7]
	v_cmp_nge_f32_e64 s[6:7], s24, v64
	v_rndne_f32_e32 v66, v67
	v_cmp_nle_f32_e64 s[2:3], s23, v64
	v_cndmask_b32_e64 v64, v54, v64, s[6:7]
	v_cmp_nge_f32_e64 s[6:7], s24, v65
	v_cmp_nle_f32_e64 s[0:1], s23, v65
	v_cndmask_b32_e64 v65, v54, v65, s[6:7]
	v_cmp_nge_f32_e64 s[6:7], s24, v66
	v_cmp_nle_f32_e32 vcc, s23, v66
	v_cndmask_b32_e64 v66, v54, v66, s[6:7]
	v_cvt_i32_f32_e32 v66, v66
	v_cvt_i32_f32_e32 v65, v65
	;; [unrolled: 1-line block ×3, first 2 shown]
	v_lshlrev_b16_e32 v6, 8, v6
	v_cndmask_b32_e32 v66, v55, v66, vcc
	v_cndmask_b32_e64 v65, v55, v65, s[0:1]
	v_cndmask_b32_e64 v64, v55, v64, s[2:3]
	v_add_u32_e32 v66, v66, v38
	v_add_u32_e32 v65, v65, v38
	;; [unrolled: 1-line block ×3, first 2 shown]
	v_cvt_i32_f32_e32 v18, v18
	v_med3_i32 v70, v64, s25, v56
	v_med3_i32 v64, v65, s25, v56
	;; [unrolled: 1-line block ×3, first 2 shown]
	v_and_b32_e32 v67, 0xffff0000, v19
	v_and_b32_e32 v66, 0xffff0000, v15
	v_or_b32_sdwa v6, v68, v6 dst_sel:DWORD dst_unused:UNUSED_PAD src0_sel:BYTE_0 src1_sel:DWORD
	v_and_b32_e32 v69, 0xffff0000, v11
	v_and_b32_e32 v68, 0xffff0000, v7
	v_pk_mul_f32 v[66:67], v[42:43], v[66:67]
	v_pk_mul_f32 v[68:69], v[40:41], v[68:69]
	v_rndne_f32_e32 v7, v66
	v_rndne_f32_e32 v11, v68
	v_cmp_nge_f32_e64 s[6:7], s24, v7
	v_cndmask_b32_e64 v18, v55, v18, s[4:5]
	v_rndne_f32_e32 v15, v69
	v_cmp_nle_f32_e64 s[4:5], s23, v7
	v_cndmask_b32_e64 v7, v54, v7, s[6:7]
	v_cmp_nge_f32_e64 s[6:7], s24, v11
	v_rndne_f32_e32 v19, v67
	v_cmp_nle_f32_e64 s[2:3], s23, v11
	v_cndmask_b32_e64 v11, v54, v11, s[6:7]
	v_cmp_nge_f32_e64 s[6:7], s24, v15
	v_cmp_nle_f32_e64 s[0:1], s23, v15
	v_cndmask_b32_e64 v15, v54, v15, s[6:7]
	v_cmp_nge_f32_e64 s[6:7], s24, v19
	v_cmp_nle_f32_e32 vcc, s23, v19
	v_cndmask_b32_e64 v19, v54, v19, s[6:7]
	v_cvt_i32_f32_e32 v15, v15
	v_cvt_i32_f32_e32 v19, v19
	;; [unrolled: 1-line block ×4, first 2 shown]
	v_cndmask_b32_e64 v15, v55, v15, s[0:1]
	v_lshlrev_b16_e32 v65, 8, v65
	v_cndmask_b32_e64 v11, v55, v11, s[2:3]
	v_cndmask_b32_e64 v7, v55, v7, s[4:5]
	v_cndmask_b32_e32 v19, v55, v19, vcc
	v_add_u32_e32 v15, v15, v38
	v_lshlrev_b32_e32 v67, 16, v20
	v_lshlrev_b32_e32 v66, 16, v16
	v_or_b32_sdwa v64, v64, v65 dst_sel:DWORD dst_unused:UNUSED_PAD src0_sel:BYTE_0 src1_sel:DWORD
	v_add_u32_e32 v19, v19, v38
	v_add_u32_e32 v65, v11, v38
	;; [unrolled: 1-line block ×3, first 2 shown]
	v_med3_i32 v15, v15, s25, v56
	v_pk_mul_f32 v[66:67], v[42:43], v[66:67]
	v_med3_i32 v11, v7, s25, v56
	v_med3_i32 v65, v65, s25, v56
	;; [unrolled: 1-line block ×3, first 2 shown]
	v_lshlrev_b16_e32 v15, 8, v15
	v_lshlrev_b32_e32 v69, 16, v12
	v_lshlrev_b32_e32 v68, 16, v8
	v_rndne_f32_e32 v19, v66
	v_or_b32_sdwa v15, v65, v15 dst_sel:DWORD dst_unused:UNUSED_PAD src0_sel:BYTE_0 src1_sel:DWORD
	v_pk_mul_f32 v[68:69], v[40:41], v[68:69]
	v_rndne_f32_e32 v65, v67
	v_cmp_nge_f32_e64 s[6:7], s24, v19
	v_rndne_f32_e32 v66, v68
	v_cmp_nle_f32_e64 s[4:5], s23, v19
	v_cndmask_b32_e64 v19, v54, v19, s[6:7]
	v_cmp_nge_f32_e64 s[6:7], s24, v65
	v_rndne_f32_e32 v67, v69
	v_cmp_nle_f32_e64 s[2:3], s23, v65
	v_cndmask_b32_e64 v65, v54, v65, s[6:7]
	v_cmp_nge_f32_e64 s[6:7], s24, v66
	v_cmp_nle_f32_e64 s[0:1], s23, v66
	v_cndmask_b32_e64 v66, v54, v66, s[6:7]
	v_cmp_nge_f32_e64 s[6:7], s24, v67
	v_cmp_nle_f32_e32 vcc, s23, v67
	v_cndmask_b32_e64 v67, v54, v67, s[6:7]
	v_cvt_i32_f32_e32 v67, v67
	v_cvt_i32_f32_e32 v66, v66
	;; [unrolled: 1-line block ×3, first 2 shown]
	v_lshlrev_b16_e32 v7, 8, v7
	v_cndmask_b32_e32 v67, v55, v67, vcc
	v_cndmask_b32_e64 v66, v55, v66, s[0:1]
	v_cndmask_b32_e64 v65, v55, v65, s[2:3]
	v_add_u32_e32 v67, v67, v38
	v_add_u32_e32 v66, v66, v38
	;; [unrolled: 1-line block ×3, first 2 shown]
	v_or_b32_sdwa v7, v70, v7 dst_sel:WORD_1 dst_unused:UNUSED_PAD src0_sel:BYTE_0 src1_sel:DWORD
	v_med3_i32 v70, v65, s25, v56
	v_med3_i32 v65, v66, s25, v56
	;; [unrolled: 1-line block ×3, first 2 shown]
	v_lshlrev_b16_e32 v66, 8, v66
	v_cvt_i32_f32_e32 v19, v19
	v_or_b32_sdwa v65, v65, v66 dst_sel:DWORD dst_unused:UNUSED_PAD src0_sel:BYTE_0 src1_sel:DWORD
	v_and_b32_e32 v67, 0xffff0000, v20
	v_and_b32_e32 v66, 0xffff0000, v16
	v_and_b32_e32 v69, 0xffff0000, v12
	v_and_b32_e32 v68, 0xffff0000, v8
	v_pk_mul_f32 v[66:67], v[42:43], v[66:67]
	v_pk_mul_f32 v[68:69], v[40:41], v[68:69]
	v_rndne_f32_e32 v8, v66
	v_rndne_f32_e32 v12, v68
	v_cmp_nge_f32_e64 s[6:7], s24, v8
	v_cndmask_b32_e64 v19, v55, v19, s[4:5]
	v_rndne_f32_e32 v16, v69
	v_cmp_nle_f32_e64 s[4:5], s23, v8
	v_cndmask_b32_e64 v8, v54, v8, s[6:7]
	v_cmp_nge_f32_e64 s[6:7], s24, v12
	v_cmp_nle_f32_e64 s[2:3], s23, v12
	v_cndmask_b32_e64 v12, v54, v12, s[6:7]
	v_cmp_nge_f32_e64 s[6:7], s24, v16
	v_cmp_nle_f32_e64 s[0:1], s23, v16
	v_cndmask_b32_e64 v16, v54, v16, s[6:7]
	v_cvt_i32_f32_e32 v16, v16
	v_rndne_f32_e32 v20, v67
	v_cvt_i32_f32_e32 v12, v12
	v_cmp_nge_f32_e64 s[6:7], s24, v20
	v_cmp_nle_f32_e32 vcc, s23, v20
	v_cndmask_b32_e64 v20, v54, v20, s[6:7]
	v_cvt_i32_f32_e32 v20, v20
	v_cvt_i32_f32_e32 v8, v8
	v_cndmask_b32_e64 v16, v55, v16, s[0:1]
	v_cndmask_b32_e64 v12, v55, v12, s[2:3]
	v_add_u32_e32 v16, v16, v38
	v_add_u32_e32 v66, v12, v38
	v_med3_i32 v16, v16, s25, v56
	v_med3_i32 v66, v66, s25, v56
	v_lshlrev_b16_e32 v16, 8, v16
	v_cndmask_b32_e64 v8, v55, v8, s[4:5]
	v_cndmask_b32_e32 v20, v55, v20, vcc
	v_or_b32_sdwa v16, v66, v16 dst_sel:DWORD dst_unused:UNUSED_PAD src0_sel:BYTE_0 src1_sel:DWORD
	v_lshlrev_b32_e32 v67, 16, v21
	v_lshlrev_b32_e32 v66, 16, v17
	v_add_u32_e32 v20, v20, v38
	v_add_u32_e32 v8, v8, v38
	v_pk_mul_f32 v[66:67], v[42:43], v[66:67]
	v_med3_i32 v12, v8, s25, v56
	v_med3_i32 v8, v20, s25, v56
	v_lshlrev_b32_e32 v69, 16, v13
	v_lshlrev_b32_e32 v68, 16, v9
	v_rndne_f32_e32 v20, v66
	v_pk_mul_f32 v[68:69], v[40:41], v[68:69]
	v_rndne_f32_e32 v66, v67
	v_cmp_nge_f32_e64 s[6:7], s24, v20
	v_rndne_f32_e32 v67, v68
	v_cmp_nle_f32_e64 s[4:5], s23, v20
	v_cndmask_b32_e64 v20, v54, v20, s[6:7]
	v_cmp_nge_f32_e64 s[6:7], s24, v66
	v_rndne_f32_e32 v68, v69
	v_cmp_nle_f32_e64 s[2:3], s23, v66
	v_cndmask_b32_e64 v66, v54, v66, s[6:7]
	v_cmp_nge_f32_e64 s[6:7], s24, v67
	v_cmp_nle_f32_e64 s[0:1], s23, v67
	v_cndmask_b32_e64 v67, v54, v67, s[6:7]
	v_cmp_nge_f32_e64 s[6:7], s24, v68
	v_cmp_nle_f32_e32 vcc, s23, v68
	v_cndmask_b32_e64 v68, v54, v68, s[6:7]
	v_cvt_i32_f32_e32 v68, v68
	v_cvt_i32_f32_e32 v67, v67
	;; [unrolled: 1-line block ×3, first 2 shown]
	v_lshlrev_b16_e32 v8, 8, v8
	v_cndmask_b32_e32 v68, v55, v68, vcc
	v_cndmask_b32_e64 v67, v55, v67, s[0:1]
	v_cndmask_b32_e64 v66, v55, v66, s[2:3]
	v_add_u32_e32 v68, v68, v38
	v_add_u32_e32 v67, v67, v38
	;; [unrolled: 1-line block ×3, first 2 shown]
	v_cvt_i32_f32_e32 v20, v20
	v_med3_i32 v72, v66, s25, v56
	v_med3_i32 v66, v67, s25, v56
	;; [unrolled: 1-line block ×3, first 2 shown]
	v_and_b32_e32 v69, 0xffff0000, v21
	v_and_b32_e32 v68, 0xffff0000, v17
	v_or_b32_sdwa v8, v70, v8 dst_sel:DWORD dst_unused:UNUSED_PAD src0_sel:BYTE_0 src1_sel:DWORD
	v_and_b32_e32 v71, 0xffff0000, v13
	v_and_b32_e32 v70, 0xffff0000, v9
	v_pk_mul_f32 v[68:69], v[42:43], v[68:69]
	v_pk_mul_f32 v[70:71], v[40:41], v[70:71]
	v_rndne_f32_e32 v9, v68
	v_rndne_f32_e32 v13, v70
	v_cmp_nge_f32_e64 s[6:7], s24, v9
	v_cndmask_b32_e64 v20, v55, v20, s[4:5]
	v_rndne_f32_e32 v17, v71
	v_cmp_nle_f32_e64 s[4:5], s23, v9
	v_cndmask_b32_e64 v9, v54, v9, s[6:7]
	v_cmp_nge_f32_e64 s[6:7], s24, v13
	v_rndne_f32_e32 v21, v69
	v_cmp_nle_f32_e64 s[2:3], s23, v13
	v_cndmask_b32_e64 v13, v54, v13, s[6:7]
	v_cmp_nge_f32_e64 s[6:7], s24, v17
	v_cmp_nle_f32_e64 s[0:1], s23, v17
	v_cndmask_b32_e64 v17, v54, v17, s[6:7]
	v_cmp_nge_f32_e64 s[6:7], s24, v21
	v_cmp_nle_f32_e32 vcc, s23, v21
	v_cndmask_b32_e64 v21, v54, v21, s[6:7]
	v_cvt_i32_f32_e32 v21, v21
	v_cvt_i32_f32_e32 v17, v17
	;; [unrolled: 1-line block ×3, first 2 shown]
	v_lshlrev_b64 v[68:69], 4, v[44:45]
	v_cndmask_b32_e32 v21, v55, v21, vcc
	v_cndmask_b32_e64 v17, v55, v17, s[0:1]
	v_add_co_u32_e32 v68, vcc, s16, v68
	v_cndmask_b32_e64 v13, v55, v13, s[2:3]
	v_add_u32_e32 v17, v17, v38
	v_addc_co_u32_e32 v69, vcc, v57, v69, vcc
	v_add_u32_e32 v13, v13, v38
	v_med3_i32 v17, v17, s25, v56
	v_add_co_u32_e32 v46, vcc, s16, v46
	v_add_u32_e32 v1, v1, v38
	v_and_b32_e32 v59, 0xffff, v59
	v_med3_i32 v13, v13, s25, v56
	v_lshlrev_b16_e32 v17, 8, v17
	v_addc_co_u32_e32 v47, vcc, v57, v47, vcc
	v_med3_i32 v1, v1, s25, v56
	v_and_b32_e32 v30, 0xffff, v30
	v_or_b32_sdwa v13, v13, v17 dst_sel:DWORD dst_unused:UNUSED_PAD src0_sel:BYTE_0 src1_sel:DWORD
	v_add_co_u32_e32 v48, vcc, s16, v48
	v_lshrrev_b32_e32 v17, 8, v59
	v_and_b32_e32 v60, 0xffff, v60
	v_addc_co_u32_e32 v49, vcc, v57, v49, vcc
	global_store_byte v[68:69], v59, off
	global_store_byte v[46:47], v17, off
	;; [unrolled: 1-line block ×3, first 2 shown]
	global_store_byte v[68:69], v30, off offset:1
	v_lshrrev_b32_e32 v1, 8, v30
	v_add_u32_e32 v34, v34, v38
	v_and_b32_e32 v31, 0xffff, v31
	global_store_byte v[46:47], v1, off offset:1
	global_store_byte v[48:49], v26, off offset:1
	global_store_byte v[68:69], v60, off offset:2
	v_lshrrev_b32_e32 v1, 8, v60
	v_med3_i32 v34, v34, s25, v56
	v_and_b32_e32 v61, 0xffff, v61
	global_store_byte v[46:47], v1, off offset:2
	global_store_byte v[48:49], v34, off offset:2
	global_store_byte v[68:69], v31, off offset:3
	v_lshrrev_b32_e32 v1, 8, v31
	v_add_u32_e32 v35, v35, v38
	v_and_b32_e32 v32, 0xffff, v32
	global_store_byte v[46:47], v1, off offset:3
	global_store_byte v[48:49], v27, off offset:3
	global_store_byte v[68:69], v61, off offset:4
	v_lshrrev_b32_e32 v1, 8, v61
	v_med3_i32 v35, v35, s25, v56
	v_and_b32_e32 v62, 0xffff, v62
	global_store_byte v[46:47], v1, off offset:4
	global_store_byte v[48:49], v35, off offset:4
	;; [unrolled: 12-line block ×3, first 2 shown]
	global_store_byte v[68:69], v33, off offset:7
	v_lshrrev_b32_e32 v1, 8, v33
	v_add_u32_e32 v37, v37, v38
	v_and_b32_e32 v14, 0xffff, v14
	global_store_byte v[46:47], v1, off offset:7
	global_store_byte v[48:49], v29, off offset:7
	;; [unrolled: 1-line block ×3, first 2 shown]
	v_lshrrev_b32_e32 v1, 8, v63
	v_med3_i32 v37, v37, s25, v56
	v_and_b32_e32 v64, 0xffff, v64
	v_cvt_i32_f32_e32 v9, v9
	global_store_byte v[46:47], v1, off offset:8
	global_store_byte v[48:49], v37, off offset:8
	;; [unrolled: 1-line block ×3, first 2 shown]
	v_lshrrev_b32_e32 v1, 8, v14
	v_add_u32_e32 v18, v18, v38
	v_and_b32_e32 v15, 0xffff, v15
	global_store_byte v[46:47], v1, off offset:9
	global_store_byte v[48:49], v10, off offset:9
	;; [unrolled: 1-line block ×3, first 2 shown]
	v_lshrrev_b32_e32 v1, 8, v64
	v_med3_i32 v18, v18, s25, v56
	v_and_b32_e32 v65, 0xffff, v65
	v_lshlrev_b16_e32 v67, 8, v67
	global_store_byte v[46:47], v1, off offset:10
	global_store_byte v[48:49], v18, off offset:10
	;; [unrolled: 1-line block ×3, first 2 shown]
	v_lshrrev_b32_e32 v1, 8, v15
	v_add_u32_e32 v19, v19, v38
	v_and_b32_e32 v16, 0xffff, v16
	v_or_b32_sdwa v66, v66, v67 dst_sel:DWORD dst_unused:UNUSED_PAD src0_sel:BYTE_0 src1_sel:DWORD
	v_add_u32_e32 v21, v21, v38
	global_store_byte v[46:47], v1, off offset:11
	global_store_byte v[48:49], v11, off offset:11
	;; [unrolled: 1-line block ×3, first 2 shown]
	v_lshrrev_b32_e32 v1, 8, v65
	v_med3_i32 v19, v19, s25, v56
	v_and_b32_e32 v66, 0xffff, v66
	v_cndmask_b32_e64 v9, v55, v9, s[4:5]
	v_med3_i32 v21, v21, s25, v56
	v_add_co_u32_e32 v50, vcc, s16, v50
	global_store_byte v[46:47], v1, off offset:12
	global_store_byte v[48:49], v19, off offset:12
	;; [unrolled: 1-line block ×3, first 2 shown]
	v_lshrrev_b32_e32 v1, 8, v16
	v_add_u32_e32 v20, v20, v38
	v_add_u32_e32 v9, v9, v38
	v_lshlrev_b16_e32 v21, 8, v21
	v_and_b32_e32 v13, 0xffff, v13
	v_addc_co_u32_e32 v51, vcc, v57, v51, vcc
	global_store_byte v[46:47], v1, off offset:13
	global_store_byte v[48:49], v12, off offset:13
	;; [unrolled: 1-line block ×3, first 2 shown]
	v_lshrrev_b32_e32 v1, 8, v66
	v_med3_i32 v20, v20, s25, v56
	v_med3_i32 v9, v9, s25, v56
	v_or_b32_sdwa v21, v72, v21 dst_sel:WORD_1 dst_unused:UNUSED_PAD src0_sel:BYTE_0 src1_sel:DWORD
	global_store_byte v[46:47], v1, off offset:14
	global_store_byte v[48:49], v20, off offset:14
	;; [unrolled: 1-line block ×3, first 2 shown]
	v_lshrrev_b32_e32 v1, 8, v13
	v_cmp_eq_u32_e32 vcc, 0, v58
	global_store_byte v[46:47], v1, off offset:15
	global_store_byte v[48:49], v9, off offset:15
	v_or_b32_sdwa v9, v8, v21 dst_sel:DWORD dst_unused:UNUSED_PAD src0_sel:WORD_0 src1_sel:DWORD
	v_or_b32_sdwa v8, v6, v7 dst_sel:DWORD dst_unused:UNUSED_PAD src0_sel:WORD_0 src1_sel:DWORD
	;; [unrolled: 1-line block ×4, first 2 shown]
	s_or_b64 s[20:21], vcc, s[20:21]
	global_store_dwordx4 v[50:51], v[6:9], off
	s_andn2_b64 exec, exec, s[20:21]
	s_cbranch_execnz .LBB11_146
; %bb.147:
	s_or_b64 exec, exec, s[20:21]
	v_cmp_ne_u32_e32 vcc, v39, v52
	v_add_u32_e32 v0, v0, v52
	s_orn2_b64 s[0:1], vcc, exec
.LBB11_148:
	s_or_b64 exec, exec, s[18:19]
	s_and_b64 exec, exec, s[0:1]
	s_cbranch_execz .LBB11_215
; %bb.149:
	v_mov_b32_e32 v1, 0
	s_add_u32 s0, s14, s12
	v_lshlrev_b64 v[2:3], 4, v[0:1]
	s_addc_u32 s1, s15, s13
	s_lshl_b32 s7, s28, 4
	v_mov_b32_e32 v4, s1
	v_add_co_u32_e32 v10, vcc, s0, v2
	s_add_u32 s0, s8, s10
	v_addc_co_u32_e32 v11, vcc, v4, v3, vcc
	v_lshlrev_b64 v[2:3], 5, v[0:1]
	s_addc_u32 s1, s9, s11
	s_mov_b32 s6, 0
	v_mov_b32_e32 v1, s1
	v_add_co_u32_e32 v12, vcc, s0, v2
	v_addc_co_u32_e32 v13, vcc, v1, v3, vcc
	s_lshl_b32 s8, s28, 5
	s_mov_b32 s9, s6
	s_mov_b64 s[0:1], 0
	s_mov_b32 s10, 0x4f000000
	s_mov_b32 s11, 0xcf000000
	s_movk_i32 s12, 0xff80
	v_mov_b32_e32 v1, 0x7f
	s_branch .LBB11_152
.LBB11_150:                             ;   in Loop: Header=BB11_152 Depth=1
	s_or_b64 exec, exec, s[4:5]
.LBB11_151:                             ;   in Loop: Header=BB11_152 Depth=1
	s_or_b64 exec, exec, s[2:3]
	v_add_u32_e32 v21, v21, v38
	v_add_u32_e32 v4, v4, v38
	;; [unrolled: 1-line block ×3, first 2 shown]
	v_med3_i32 v21, v21, s12, v1
	v_add_u32_e32 v3, v3, v38
	v_med3_i32 v4, v4, s12, v1
	v_med3_i32 v5, v5, s12, v1
	;; [unrolled: 1-line block ×3, first 2 shown]
	v_add_u32_e32 v20, v20, v38
	v_add_u32_e32 v19, v19, v38
	v_lshlrev_b16_e32 v21, 8, v21
	v_lshlrev_b16_e32 v4, 8, v4
	v_med3_i32 v20, v20, s12, v1
	v_add_u32_e32 v2, v2, v38
	v_med3_i32 v19, v19, s12, v1
	v_add_u32_e32 v9, v9, v38
	v_or_b32_sdwa v3, v3, v21 dst_sel:DWORD dst_unused:UNUSED_PAD src0_sel:BYTE_0 src1_sel:DWORD
	v_or_b32_sdwa v4, v5, v4 dst_sel:WORD_1 dst_unused:UNUSED_PAD src0_sel:BYTE_0 src1_sel:DWORD
	v_med3_i32 v2, v2, s12, v1
	v_med3_i32 v9, v9, s12, v1
	v_add_u32_e32 v18, v18, v38
	v_add_u32_e32 v17, v17, v38
	v_or_b32_sdwa v5, v3, v4 dst_sel:DWORD dst_unused:UNUSED_PAD src0_sel:WORD_0 src1_sel:DWORD
	v_lshlrev_b16_e32 v3, 8, v19
	v_lshlrev_b16_e32 v4, 8, v20
	v_med3_i32 v18, v18, s12, v1
	v_add_u32_e32 v8, v8, v38
	v_med3_i32 v17, v17, s12, v1
	v_add_u32_e32 v7, v7, v38
	v_or_b32_sdwa v3, v9, v3 dst_sel:DWORD dst_unused:UNUSED_PAD src0_sel:BYTE_0 src1_sel:DWORD
	v_or_b32_sdwa v2, v2, v4 dst_sel:WORD_1 dst_unused:UNUSED_PAD src0_sel:BYTE_0 src1_sel:DWORD
	v_med3_i32 v8, v8, s12, v1
	v_med3_i32 v7, v7, s12, v1
	v_add_u32_e32 v16, v16, v38
	v_add_u32_e32 v14, v14, v38
	v_or_b32_sdwa v4, v3, v2 dst_sel:DWORD dst_unused:UNUSED_PAD src0_sel:WORD_0 src1_sel:DWORD
	v_lshlrev_b16_e32 v2, 8, v17
	v_lshlrev_b16_e32 v3, 8, v18
	v_med3_i32 v16, v16, s12, v1
	v_add_u32_e32 v6, v6, v38
	v_med3_i32 v14, v14, s12, v1
	v_add_u32_e32 v15, v15, v38
	v_or_b32_sdwa v2, v7, v2 dst_sel:DWORD dst_unused:UNUSED_PAD src0_sel:BYTE_0 src1_sel:DWORD
	v_or_b32_sdwa v3, v8, v3 dst_sel:WORD_1 dst_unused:UNUSED_PAD src0_sel:BYTE_0 src1_sel:DWORD
	v_med3_i32 v6, v6, s12, v1
	v_med3_i32 v15, v15, s12, v1
	v_or_b32_sdwa v3, v2, v3 dst_sel:DWORD dst_unused:UNUSED_PAD src0_sel:WORD_0 src1_sel:DWORD
	v_lshlrev_b16_e32 v2, 8, v14
	v_lshlrev_b16_e32 v7, 8, v16
	v_or_b32_sdwa v2, v15, v2 dst_sel:DWORD dst_unused:UNUSED_PAD src0_sel:BYTE_0 src1_sel:DWORD
	v_or_b32_sdwa v6, v6, v7 dst_sel:WORD_1 dst_unused:UNUSED_PAD src0_sel:BYTE_0 src1_sel:DWORD
	v_or_b32_sdwa v2, v2, v6 dst_sel:DWORD dst_unused:UNUSED_PAD src0_sel:WORD_0 src1_sel:DWORD
	global_store_dwordx4 v[10:11], v[2:5], off
	v_add_co_u32_e32 v10, vcc, s7, v10
	v_mov_b32_e32 v2, s6
	v_add_u32_e32 v0, s28, v0
	v_addc_co_u32_e32 v11, vcc, v11, v2, vcc
	v_cmp_le_i32_e32 vcc, s22, v0
	v_mov_b32_e32 v2, s9
	s_or_b64 s[0:1], vcc, s[0:1]
	v_add_co_u32_e32 v12, vcc, s8, v12
	v_addc_co_u32_e32 v13, vcc, v13, v2, vcc
	s_andn2_b64 exec, exec, s[0:1]
	s_cbranch_execz .LBB11_215
.LBB11_152:                             ; =>This Inner Loop Header: Depth=1
	global_load_dwordx4 v[6:9], v[12:13], off
	global_load_dwordx4 v[2:5], v[12:13], off offset:16
	v_bfrev_b32_e32 v14, -2
	s_waitcnt vmcnt(1)
	v_lshlrev_b32_e32 v15, 16, v6
	v_mul_f32_e32 v15, v40, v15
	v_rndne_f32_e32 v16, v15
	v_cmp_nle_f32_e32 vcc, s10, v16
	v_bfrev_b32_e32 v15, -2
	s_and_saveexec_b64 s[2:3], vcc
	s_cbranch_execz .LBB11_156
; %bb.153:                              ;   in Loop: Header=BB11_152 Depth=1
	v_cmp_nge_f32_e32 vcc, s11, v16
	v_bfrev_b32_e32 v15, 1
	s_and_saveexec_b64 s[4:5], vcc
; %bb.154:                              ;   in Loop: Header=BB11_152 Depth=1
	v_cvt_i32_f32_e32 v15, v16
; %bb.155:                              ;   in Loop: Header=BB11_152 Depth=1
	s_or_b64 exec, exec, s[4:5]
.LBB11_156:                             ;   in Loop: Header=BB11_152 Depth=1
	s_or_b64 exec, exec, s[2:3]
	v_and_b32_e32 v6, 0xffff0000, v6
	v_mul_f32_e32 v6, v40, v6
	v_rndne_f32_e32 v6, v6
	v_cmp_nle_f32_e32 vcc, s10, v6
	s_and_saveexec_b64 s[2:3], vcc
	s_cbranch_execz .LBB11_160
; %bb.157:                              ;   in Loop: Header=BB11_152 Depth=1
	v_cmp_nge_f32_e32 vcc, s11, v6
	v_bfrev_b32_e32 v14, 1
	s_and_saveexec_b64 s[4:5], vcc
; %bb.158:                              ;   in Loop: Header=BB11_152 Depth=1
	v_cvt_i32_f32_e32 v14, v6
; %bb.159:                              ;   in Loop: Header=BB11_152 Depth=1
	s_or_b64 exec, exec, s[4:5]
.LBB11_160:                             ;   in Loop: Header=BB11_152 Depth=1
	s_or_b64 exec, exec, s[2:3]
	v_lshlrev_b32_e32 v6, 16, v7
	v_mul_f32_e32 v6, v40, v6
	v_rndne_f32_e32 v17, v6
	v_cmp_nle_f32_e32 vcc, s10, v17
	v_bfrev_b32_e32 v16, -2
	v_bfrev_b32_e32 v6, -2
	s_and_saveexec_b64 s[2:3], vcc
	s_cbranch_execz .LBB11_164
; %bb.161:                              ;   in Loop: Header=BB11_152 Depth=1
	v_cmp_nge_f32_e32 vcc, s11, v17
	v_bfrev_b32_e32 v6, 1
	s_and_saveexec_b64 s[4:5], vcc
; %bb.162:                              ;   in Loop: Header=BB11_152 Depth=1
	v_cvt_i32_f32_e32 v6, v17
; %bb.163:                              ;   in Loop: Header=BB11_152 Depth=1
	s_or_b64 exec, exec, s[4:5]
.LBB11_164:                             ;   in Loop: Header=BB11_152 Depth=1
	s_or_b64 exec, exec, s[2:3]
	v_and_b32_e32 v7, 0xffff0000, v7
	v_mul_f32_e32 v7, v40, v7
	v_rndne_f32_e32 v7, v7
	v_cmp_nle_f32_e32 vcc, s10, v7
	s_and_saveexec_b64 s[2:3], vcc
	s_cbranch_execz .LBB11_168
; %bb.165:                              ;   in Loop: Header=BB11_152 Depth=1
	v_cmp_nge_f32_e32 vcc, s11, v7
	v_bfrev_b32_e32 v16, 1
	s_and_saveexec_b64 s[4:5], vcc
; %bb.166:                              ;   in Loop: Header=BB11_152 Depth=1
	v_cvt_i32_f32_e32 v16, v7
; %bb.167:                              ;   in Loop: Header=BB11_152 Depth=1
	s_or_b64 exec, exec, s[4:5]
.LBB11_168:                             ;   in Loop: Header=BB11_152 Depth=1
	s_or_b64 exec, exec, s[2:3]
	v_lshlrev_b32_e32 v7, 16, v8
	v_mul_f32_e32 v7, v40, v7
	v_rndne_f32_e32 v18, v7
	v_cmp_nle_f32_e32 vcc, s10, v18
	v_bfrev_b32_e32 v17, -2
	v_bfrev_b32_e32 v7, -2
	s_and_saveexec_b64 s[2:3], vcc
	s_cbranch_execz .LBB11_172
; %bb.169:                              ;   in Loop: Header=BB11_152 Depth=1
	v_cmp_nge_f32_e32 vcc, s11, v18
	v_bfrev_b32_e32 v7, 1
	s_and_saveexec_b64 s[4:5], vcc
; %bb.170:                              ;   in Loop: Header=BB11_152 Depth=1
	v_cvt_i32_f32_e32 v7, v18
; %bb.171:                              ;   in Loop: Header=BB11_152 Depth=1
	s_or_b64 exec, exec, s[4:5]
.LBB11_172:                             ;   in Loop: Header=BB11_152 Depth=1
	s_or_b64 exec, exec, s[2:3]
	v_and_b32_e32 v8, 0xffff0000, v8
	v_mul_f32_e32 v8, v40, v8
	v_rndne_f32_e32 v8, v8
	v_cmp_nle_f32_e32 vcc, s10, v8
	s_and_saveexec_b64 s[2:3], vcc
	s_cbranch_execz .LBB11_176
; %bb.173:                              ;   in Loop: Header=BB11_152 Depth=1
	v_cmp_nge_f32_e32 vcc, s11, v8
	v_bfrev_b32_e32 v17, 1
	s_and_saveexec_b64 s[4:5], vcc
; %bb.174:                              ;   in Loop: Header=BB11_152 Depth=1
	v_cvt_i32_f32_e32 v17, v8
; %bb.175:                              ;   in Loop: Header=BB11_152 Depth=1
	s_or_b64 exec, exec, s[4:5]
.LBB11_176:                             ;   in Loop: Header=BB11_152 Depth=1
	s_or_b64 exec, exec, s[2:3]
	v_lshlrev_b32_e32 v8, 16, v9
	v_mul_f32_e32 v8, v40, v8
	v_rndne_f32_e32 v19, v8
	v_cmp_nle_f32_e32 vcc, s10, v19
	v_bfrev_b32_e32 v18, -2
	v_bfrev_b32_e32 v8, -2
	s_and_saveexec_b64 s[2:3], vcc
	s_cbranch_execz .LBB11_180
; %bb.177:                              ;   in Loop: Header=BB11_152 Depth=1
	v_cmp_nge_f32_e32 vcc, s11, v19
	v_bfrev_b32_e32 v8, 1
	s_and_saveexec_b64 s[4:5], vcc
; %bb.178:                              ;   in Loop: Header=BB11_152 Depth=1
	v_cvt_i32_f32_e32 v8, v19
; %bb.179:                              ;   in Loop: Header=BB11_152 Depth=1
	s_or_b64 exec, exec, s[4:5]
.LBB11_180:                             ;   in Loop: Header=BB11_152 Depth=1
	s_or_b64 exec, exec, s[2:3]
	v_and_b32_e32 v9, 0xffff0000, v9
	v_mul_f32_e32 v9, v40, v9
	v_rndne_f32_e32 v9, v9
	v_cmp_nle_f32_e32 vcc, s10, v9
	s_and_saveexec_b64 s[2:3], vcc
	s_cbranch_execz .LBB11_184
; %bb.181:                              ;   in Loop: Header=BB11_152 Depth=1
	v_cmp_nge_f32_e32 vcc, s11, v9
	v_bfrev_b32_e32 v18, 1
	s_and_saveexec_b64 s[4:5], vcc
; %bb.182:                              ;   in Loop: Header=BB11_152 Depth=1
	v_cvt_i32_f32_e32 v18, v9
; %bb.183:                              ;   in Loop: Header=BB11_152 Depth=1
	s_or_b64 exec, exec, s[4:5]
.LBB11_184:                             ;   in Loop: Header=BB11_152 Depth=1
	s_or_b64 exec, exec, s[2:3]
	s_waitcnt vmcnt(0)
	v_lshlrev_b32_e32 v9, 16, v2
	v_mul_f32_e32 v9, v40, v9
	v_rndne_f32_e32 v20, v9
	v_cmp_nle_f32_e32 vcc, s10, v20
	v_bfrev_b32_e32 v19, -2
	v_bfrev_b32_e32 v9, -2
	s_and_saveexec_b64 s[2:3], vcc
	s_cbranch_execz .LBB11_188
; %bb.185:                              ;   in Loop: Header=BB11_152 Depth=1
	v_cmp_nge_f32_e32 vcc, s11, v20
	v_bfrev_b32_e32 v9, 1
	s_and_saveexec_b64 s[4:5], vcc
; %bb.186:                              ;   in Loop: Header=BB11_152 Depth=1
	v_cvt_i32_f32_e32 v9, v20
; %bb.187:                              ;   in Loop: Header=BB11_152 Depth=1
	s_or_b64 exec, exec, s[4:5]
.LBB11_188:                             ;   in Loop: Header=BB11_152 Depth=1
	s_or_b64 exec, exec, s[2:3]
	v_and_b32_e32 v2, 0xffff0000, v2
	v_mul_f32_e32 v2, v40, v2
	v_rndne_f32_e32 v2, v2
	v_cmp_nle_f32_e32 vcc, s10, v2
	s_and_saveexec_b64 s[2:3], vcc
	s_cbranch_execz .LBB11_192
; %bb.189:                              ;   in Loop: Header=BB11_152 Depth=1
	v_cmp_nge_f32_e32 vcc, s11, v2
	v_bfrev_b32_e32 v19, 1
	s_and_saveexec_b64 s[4:5], vcc
; %bb.190:                              ;   in Loop: Header=BB11_152 Depth=1
	v_cvt_i32_f32_e32 v19, v2
; %bb.191:                              ;   in Loop: Header=BB11_152 Depth=1
	s_or_b64 exec, exec, s[4:5]
.LBB11_192:                             ;   in Loop: Header=BB11_152 Depth=1
	s_or_b64 exec, exec, s[2:3]
	v_lshlrev_b32_e32 v2, 16, v3
	v_mul_f32_e32 v2, v40, v2
	v_rndne_f32_e32 v21, v2
	v_cmp_nle_f32_e32 vcc, s10, v21
	v_bfrev_b32_e32 v20, -2
	v_bfrev_b32_e32 v2, -2
	s_and_saveexec_b64 s[2:3], vcc
	s_cbranch_execz .LBB11_196
; %bb.193:                              ;   in Loop: Header=BB11_152 Depth=1
	v_cmp_nge_f32_e32 vcc, s11, v21
	v_bfrev_b32_e32 v2, 1
	s_and_saveexec_b64 s[4:5], vcc
; %bb.194:                              ;   in Loop: Header=BB11_152 Depth=1
	v_cvt_i32_f32_e32 v2, v21
; %bb.195:                              ;   in Loop: Header=BB11_152 Depth=1
	s_or_b64 exec, exec, s[4:5]
.LBB11_196:                             ;   in Loop: Header=BB11_152 Depth=1
	s_or_b64 exec, exec, s[2:3]
	v_and_b32_e32 v3, 0xffff0000, v3
	v_mul_f32_e32 v3, v40, v3
	v_rndne_f32_e32 v3, v3
	v_cmp_nle_f32_e32 vcc, s10, v3
	s_and_saveexec_b64 s[2:3], vcc
	s_cbranch_execz .LBB11_200
; %bb.197:                              ;   in Loop: Header=BB11_152 Depth=1
	v_cmp_nge_f32_e32 vcc, s11, v3
	v_bfrev_b32_e32 v20, 1
	s_and_saveexec_b64 s[4:5], vcc
; %bb.198:                              ;   in Loop: Header=BB11_152 Depth=1
	v_cvt_i32_f32_e32 v20, v3
; %bb.199:                              ;   in Loop: Header=BB11_152 Depth=1
	s_or_b64 exec, exec, s[4:5]
.LBB11_200:                             ;   in Loop: Header=BB11_152 Depth=1
	s_or_b64 exec, exec, s[2:3]
	;; [unrolled: 34-line block ×3, first 2 shown]
	v_lshlrev_b32_e32 v4, 16, v5
	v_mul_f32_e32 v4, v40, v4
	v_rndne_f32_e32 v23, v4
	v_cmp_nle_f32_e32 vcc, s10, v23
	v_bfrev_b32_e32 v4, -2
	v_bfrev_b32_e32 v22, -2
	s_and_saveexec_b64 s[2:3], vcc
	s_cbranch_execz .LBB11_212
; %bb.209:                              ;   in Loop: Header=BB11_152 Depth=1
	v_cmp_nge_f32_e32 vcc, s11, v23
	v_bfrev_b32_e32 v22, 1
	s_and_saveexec_b64 s[4:5], vcc
; %bb.210:                              ;   in Loop: Header=BB11_152 Depth=1
	v_cvt_i32_f32_e32 v22, v23
; %bb.211:                              ;   in Loop: Header=BB11_152 Depth=1
	s_or_b64 exec, exec, s[4:5]
.LBB11_212:                             ;   in Loop: Header=BB11_152 Depth=1
	s_or_b64 exec, exec, s[2:3]
	v_and_b32_e32 v5, 0xffff0000, v5
	v_mul_f32_e32 v5, v40, v5
	v_rndne_f32_e32 v5, v5
	v_cmp_nle_f32_e32 vcc, s10, v5
	s_and_saveexec_b64 s[2:3], vcc
	s_cbranch_execz .LBB11_151
; %bb.213:                              ;   in Loop: Header=BB11_152 Depth=1
	v_cmp_nge_f32_e32 vcc, s11, v5
	v_bfrev_b32_e32 v4, 1
	s_and_saveexec_b64 s[4:5], vcc
	s_cbranch_execz .LBB11_150
; %bb.214:                              ;   in Loop: Header=BB11_152 Depth=1
	v_cvt_i32_f32_e32 v4, v5
	s_branch .LBB11_150
.LBB11_215:
	s_endpgm
	.section	.rodata,"a",@progbits
	.p2align	6, 0x0
	.amdhsa_kernel _ZN4vllm36dynamic_scaled_int8_azp_quant_kernelIN3c108BFloat16EfiEEvPKT_PaPT0_PT1_i
		.amdhsa_group_segment_fixed_size 40
		.amdhsa_private_segment_fixed_size 0
		.amdhsa_kernarg_size 296
		.amdhsa_user_sgpr_count 6
		.amdhsa_user_sgpr_private_segment_buffer 1
		.amdhsa_user_sgpr_dispatch_ptr 0
		.amdhsa_user_sgpr_queue_ptr 0
		.amdhsa_user_sgpr_kernarg_segment_ptr 1
		.amdhsa_user_sgpr_dispatch_id 0
		.amdhsa_user_sgpr_flat_scratch_init 0
		.amdhsa_user_sgpr_kernarg_preload_length 0
		.amdhsa_user_sgpr_kernarg_preload_offset 0
		.amdhsa_user_sgpr_private_segment_size 0
		.amdhsa_uses_dynamic_stack 0
		.amdhsa_system_sgpr_private_segment_wavefront_offset 0
		.amdhsa_system_sgpr_workgroup_id_x 1
		.amdhsa_system_sgpr_workgroup_id_y 0
		.amdhsa_system_sgpr_workgroup_id_z 0
		.amdhsa_system_sgpr_workgroup_info 0
		.amdhsa_system_vgpr_workitem_id 0
		.amdhsa_next_free_vgpr 73
		.amdhsa_next_free_sgpr 42
		.amdhsa_accum_offset 76
		.amdhsa_reserve_vcc 1
		.amdhsa_reserve_flat_scratch 0
		.amdhsa_float_round_mode_32 0
		.amdhsa_float_round_mode_16_64 0
		.amdhsa_float_denorm_mode_32 3
		.amdhsa_float_denorm_mode_16_64 3
		.amdhsa_dx10_clamp 1
		.amdhsa_ieee_mode 1
		.amdhsa_fp16_overflow 0
		.amdhsa_tg_split 0
		.amdhsa_exception_fp_ieee_invalid_op 0
		.amdhsa_exception_fp_denorm_src 0
		.amdhsa_exception_fp_ieee_div_zero 0
		.amdhsa_exception_fp_ieee_overflow 0
		.amdhsa_exception_fp_ieee_underflow 0
		.amdhsa_exception_fp_ieee_inexact 0
		.amdhsa_exception_int_div_zero 0
	.end_amdhsa_kernel
	.section	.text._ZN4vllm36dynamic_scaled_int8_azp_quant_kernelIN3c108BFloat16EfiEEvPKT_PaPT0_PT1_i,"axG",@progbits,_ZN4vllm36dynamic_scaled_int8_azp_quant_kernelIN3c108BFloat16EfiEEvPKT_PaPT0_PT1_i,comdat
.Lfunc_end11:
	.size	_ZN4vllm36dynamic_scaled_int8_azp_quant_kernelIN3c108BFloat16EfiEEvPKT_PaPT0_PT1_i, .Lfunc_end11-_ZN4vllm36dynamic_scaled_int8_azp_quant_kernelIN3c108BFloat16EfiEEvPKT_PaPT0_PT1_i
                                        ; -- End function
	.section	.AMDGPU.csdata,"",@progbits
; Kernel info:
; codeLenInByte = 17672
; NumSgprs: 46
; NumVgprs: 73
; NumAgprs: 0
; TotalNumVgprs: 73
; ScratchSize: 0
; MemoryBound: 0
; FloatMode: 240
; IeeeMode: 1
; LDSByteSize: 40 bytes/workgroup (compile time only)
; SGPRBlocks: 5
; VGPRBlocks: 9
; NumSGPRsForWavesPerEU: 46
; NumVGPRsForWavesPerEU: 73
; AccumOffset: 76
; Occupancy: 6
; WaveLimiterHint : 0
; COMPUTE_PGM_RSRC2:SCRATCH_EN: 0
; COMPUTE_PGM_RSRC2:USER_SGPR: 6
; COMPUTE_PGM_RSRC2:TRAP_HANDLER: 0
; COMPUTE_PGM_RSRC2:TGID_X_EN: 1
; COMPUTE_PGM_RSRC2:TGID_Y_EN: 0
; COMPUTE_PGM_RSRC2:TGID_Z_EN: 0
; COMPUTE_PGM_RSRC2:TIDIG_COMP_CNT: 0
; COMPUTE_PGM_RSRC3_GFX90A:ACCUM_OFFSET: 18
; COMPUTE_PGM_RSRC3_GFX90A:TG_SPLIT: 0
	.text
	.p2alignl 6, 3212836864
	.fill 256, 4, 3212836864
	.type	__hip_cuid_1e99d0fd34192c6e,@object ; @__hip_cuid_1e99d0fd34192c6e
	.section	.bss,"aw",@nobits
	.globl	__hip_cuid_1e99d0fd34192c6e
__hip_cuid_1e99d0fd34192c6e:
	.byte	0                               ; 0x0
	.size	__hip_cuid_1e99d0fd34192c6e, 1

	.ident	"AMD clang version 19.0.0git (https://github.com/RadeonOpenCompute/llvm-project roc-6.4.0 25133 c7fe45cf4b819c5991fe208aaa96edf142730f1d)"
	.section	".note.GNU-stack","",@progbits
	.addrsig
	.addrsig_sym __hip_cuid_1e99d0fd34192c6e
	.amdgpu_metadata
---
amdhsa.kernels:
  - .agpr_count:     0
    .args:
      - .address_space:  global
        .offset:         0
        .size:           8
        .value_kind:     global_buffer
      - .actual_access:  write_only
        .address_space:  global
        .offset:         8
        .size:           8
        .value_kind:     global_buffer
      - .address_space:  global
        .offset:         16
        .size:           8
        .value_kind:     global_buffer
      - .offset:         24
        .size:           4
        .value_kind:     by_value
      - .offset:         32
        .size:           4
        .value_kind:     hidden_block_count_x
      - .offset:         36
        .size:           4
        .value_kind:     hidden_block_count_y
      - .offset:         40
        .size:           4
        .value_kind:     hidden_block_count_z
      - .offset:         44
        .size:           2
        .value_kind:     hidden_group_size_x
      - .offset:         46
        .size:           2
        .value_kind:     hidden_group_size_y
      - .offset:         48
        .size:           2
        .value_kind:     hidden_group_size_z
      - .offset:         50
        .size:           2
        .value_kind:     hidden_remainder_x
      - .offset:         52
        .size:           2
        .value_kind:     hidden_remainder_y
      - .offset:         54
        .size:           2
        .value_kind:     hidden_remainder_z
      - .offset:         72
        .size:           8
        .value_kind:     hidden_global_offset_x
      - .offset:         80
        .size:           8
        .value_kind:     hidden_global_offset_y
      - .offset:         88
        .size:           8
        .value_kind:     hidden_global_offset_z
      - .offset:         96
        .size:           2
        .value_kind:     hidden_grid_dims
    .group_segment_fixed_size: 0
    .kernarg_segment_align: 8
    .kernarg_segment_size: 288
    .language:       OpenCL C
    .language_version:
      - 2
      - 0
    .max_flat_workgroup_size: 1024
    .name:           _ZN4vllm31static_scaled_int8_quant_kernelIffEEvPKT_PaPKT0_i
    .private_segment_fixed_size: 0
    .sgpr_count:     34
    .sgpr_spill_count: 0
    .symbol:         _ZN4vllm31static_scaled_int8_quant_kernelIffEEvPKT_PaPKT0_i.kd
    .uniform_work_group_size: 1
    .uses_dynamic_stack: false
    .vgpr_count:     32
    .vgpr_spill_count: 0
    .wavefront_size: 64
  - .agpr_count:     0
    .args:
      - .address_space:  global
        .offset:         0
        .size:           8
        .value_kind:     global_buffer
      - .actual_access:  write_only
        .address_space:  global
        .offset:         8
        .size:           8
        .value_kind:     global_buffer
      - .address_space:  global
        .offset:         16
        .size:           8
        .value_kind:     global_buffer
      - .address_space:  global
        .offset:         24
        .size:           8
        .value_kind:     global_buffer
      - .offset:         32
        .size:           4
        .value_kind:     by_value
      - .offset:         40
        .size:           4
        .value_kind:     hidden_block_count_x
      - .offset:         44
        .size:           4
        .value_kind:     hidden_block_count_y
      - .offset:         48
        .size:           4
        .value_kind:     hidden_block_count_z
      - .offset:         52
        .size:           2
        .value_kind:     hidden_group_size_x
      - .offset:         54
        .size:           2
        .value_kind:     hidden_group_size_y
      - .offset:         56
        .size:           2
        .value_kind:     hidden_group_size_z
      - .offset:         58
        .size:           2
        .value_kind:     hidden_remainder_x
      - .offset:         60
        .size:           2
        .value_kind:     hidden_remainder_y
      - .offset:         62
        .size:           2
        .value_kind:     hidden_remainder_z
      - .offset:         80
        .size:           8
        .value_kind:     hidden_global_offset_x
      - .offset:         88
        .size:           8
        .value_kind:     hidden_global_offset_y
      - .offset:         96
        .size:           8
        .value_kind:     hidden_global_offset_z
      - .offset:         104
        .size:           2
        .value_kind:     hidden_grid_dims
    .group_segment_fixed_size: 0
    .kernarg_segment_align: 8
    .kernarg_segment_size: 296
    .language:       OpenCL C
    .language_version:
      - 2
      - 0
    .max_flat_workgroup_size: 1024
    .name:           _ZN4vllm35static_scaled_int8_azp_quant_kernelIffiEEvPKT_PaPKT0_PKT1_i
    .private_segment_fixed_size: 0
    .sgpr_count:     100
    .sgpr_spill_count: 2
    .symbol:         _ZN4vllm35static_scaled_int8_azp_quant_kernelIffiEEvPKT_PaPKT0_PKT1_i.kd
    .uniform_work_group_size: 1
    .uses_dynamic_stack: false
    .vgpr_count:     63
    .vgpr_spill_count: 0
    .wavefront_size: 64
  - .agpr_count:     0
    .args:
      - .address_space:  global
        .offset:         0
        .size:           8
        .value_kind:     global_buffer
      - .actual_access:  write_only
        .address_space:  global
        .offset:         8
        .size:           8
        .value_kind:     global_buffer
      - .address_space:  global
        .offset:         16
        .size:           8
        .value_kind:     global_buffer
      - .offset:         24
        .size:           4
        .value_kind:     by_value
      - .offset:         32
        .size:           4
        .value_kind:     hidden_block_count_x
      - .offset:         36
        .size:           4
        .value_kind:     hidden_block_count_y
      - .offset:         40
        .size:           4
        .value_kind:     hidden_block_count_z
      - .offset:         44
        .size:           2
        .value_kind:     hidden_group_size_x
      - .offset:         46
        .size:           2
        .value_kind:     hidden_group_size_y
      - .offset:         48
        .size:           2
        .value_kind:     hidden_group_size_z
      - .offset:         50
        .size:           2
        .value_kind:     hidden_remainder_x
      - .offset:         52
        .size:           2
        .value_kind:     hidden_remainder_y
      - .offset:         54
        .size:           2
        .value_kind:     hidden_remainder_z
      - .offset:         72
        .size:           8
        .value_kind:     hidden_global_offset_x
      - .offset:         80
        .size:           8
        .value_kind:     hidden_global_offset_y
      - .offset:         88
        .size:           8
        .value_kind:     hidden_global_offset_z
      - .offset:         96
        .size:           2
        .value_kind:     hidden_grid_dims
    .group_segment_fixed_size: 0
    .kernarg_segment_align: 8
    .kernarg_segment_size: 288
    .language:       OpenCL C
    .language_version:
      - 2
      - 0
    .max_flat_workgroup_size: 1024
    .name:           _ZN4vllm31static_scaled_int8_quant_kernelIN3c104HalfEfEEvPKT_PaPKT0_i
    .private_segment_fixed_size: 0
    .sgpr_count:     39
    .sgpr_spill_count: 0
    .symbol:         _ZN4vllm31static_scaled_int8_quant_kernelIN3c104HalfEfEEvPKT_PaPKT0_i.kd
    .uniform_work_group_size: 1
    .uses_dynamic_stack: false
    .vgpr_count:     36
    .vgpr_spill_count: 0
    .wavefront_size: 64
  - .agpr_count:     0
    .args:
      - .address_space:  global
        .offset:         0
        .size:           8
        .value_kind:     global_buffer
      - .actual_access:  write_only
        .address_space:  global
        .offset:         8
        .size:           8
        .value_kind:     global_buffer
      - .address_space:  global
        .offset:         16
        .size:           8
        .value_kind:     global_buffer
      - .address_space:  global
        .offset:         24
        .size:           8
        .value_kind:     global_buffer
      - .offset:         32
        .size:           4
        .value_kind:     by_value
      - .offset:         40
        .size:           4
        .value_kind:     hidden_block_count_x
      - .offset:         44
        .size:           4
        .value_kind:     hidden_block_count_y
      - .offset:         48
        .size:           4
        .value_kind:     hidden_block_count_z
      - .offset:         52
        .size:           2
        .value_kind:     hidden_group_size_x
      - .offset:         54
        .size:           2
        .value_kind:     hidden_group_size_y
      - .offset:         56
        .size:           2
        .value_kind:     hidden_group_size_z
      - .offset:         58
        .size:           2
        .value_kind:     hidden_remainder_x
      - .offset:         60
        .size:           2
        .value_kind:     hidden_remainder_y
      - .offset:         62
        .size:           2
        .value_kind:     hidden_remainder_z
      - .offset:         80
        .size:           8
        .value_kind:     hidden_global_offset_x
      - .offset:         88
        .size:           8
        .value_kind:     hidden_global_offset_y
      - .offset:         96
        .size:           8
        .value_kind:     hidden_global_offset_z
      - .offset:         104
        .size:           2
        .value_kind:     hidden_grid_dims
    .group_segment_fixed_size: 0
    .kernarg_segment_align: 8
    .kernarg_segment_size: 296
    .language:       OpenCL C
    .language_version:
      - 2
      - 0
    .max_flat_workgroup_size: 1024
    .name:           _ZN4vllm35static_scaled_int8_azp_quant_kernelIN3c104HalfEfiEEvPKT_PaPKT0_PKT1_i
    .private_segment_fixed_size: 0
    .sgpr_count:     50
    .sgpr_spill_count: 0
    .symbol:         _ZN4vllm35static_scaled_int8_azp_quant_kernelIN3c104HalfEfiEEvPKT_PaPKT0_PKT1_i.kd
    .uniform_work_group_size: 1
    .uses_dynamic_stack: false
    .vgpr_count:     71
    .vgpr_spill_count: 0
    .wavefront_size: 64
  - .agpr_count:     0
    .args:
      - .address_space:  global
        .offset:         0
        .size:           8
        .value_kind:     global_buffer
      - .actual_access:  write_only
        .address_space:  global
        .offset:         8
        .size:           8
        .value_kind:     global_buffer
      - .address_space:  global
        .offset:         16
        .size:           8
        .value_kind:     global_buffer
      - .offset:         24
        .size:           4
        .value_kind:     by_value
      - .offset:         32
        .size:           4
        .value_kind:     hidden_block_count_x
      - .offset:         36
        .size:           4
        .value_kind:     hidden_block_count_y
      - .offset:         40
        .size:           4
        .value_kind:     hidden_block_count_z
      - .offset:         44
        .size:           2
        .value_kind:     hidden_group_size_x
      - .offset:         46
        .size:           2
        .value_kind:     hidden_group_size_y
      - .offset:         48
        .size:           2
        .value_kind:     hidden_group_size_z
      - .offset:         50
        .size:           2
        .value_kind:     hidden_remainder_x
      - .offset:         52
        .size:           2
        .value_kind:     hidden_remainder_y
      - .offset:         54
        .size:           2
        .value_kind:     hidden_remainder_z
      - .offset:         72
        .size:           8
        .value_kind:     hidden_global_offset_x
      - .offset:         80
        .size:           8
        .value_kind:     hidden_global_offset_y
      - .offset:         88
        .size:           8
        .value_kind:     hidden_global_offset_z
      - .offset:         96
        .size:           2
        .value_kind:     hidden_grid_dims
    .group_segment_fixed_size: 0
    .kernarg_segment_align: 8
    .kernarg_segment_size: 288
    .language:       OpenCL C
    .language_version:
      - 2
      - 0
    .max_flat_workgroup_size: 1024
    .name:           _ZN4vllm31static_scaled_int8_quant_kernelIN3c108BFloat16EfEEvPKT_PaPKT0_i
    .private_segment_fixed_size: 0
    .sgpr_count:     39
    .sgpr_spill_count: 0
    .symbol:         _ZN4vllm31static_scaled_int8_quant_kernelIN3c108BFloat16EfEEvPKT_PaPKT0_i.kd
    .uniform_work_group_size: 1
    .uses_dynamic_stack: false
    .vgpr_count:     36
    .vgpr_spill_count: 0
    .wavefront_size: 64
  - .agpr_count:     0
    .args:
      - .address_space:  global
        .offset:         0
        .size:           8
        .value_kind:     global_buffer
      - .actual_access:  write_only
        .address_space:  global
        .offset:         8
        .size:           8
        .value_kind:     global_buffer
      - .address_space:  global
        .offset:         16
        .size:           8
        .value_kind:     global_buffer
      - .address_space:  global
        .offset:         24
        .size:           8
        .value_kind:     global_buffer
      - .offset:         32
        .size:           4
        .value_kind:     by_value
      - .offset:         40
        .size:           4
        .value_kind:     hidden_block_count_x
      - .offset:         44
        .size:           4
        .value_kind:     hidden_block_count_y
      - .offset:         48
        .size:           4
        .value_kind:     hidden_block_count_z
      - .offset:         52
        .size:           2
        .value_kind:     hidden_group_size_x
      - .offset:         54
        .size:           2
        .value_kind:     hidden_group_size_y
      - .offset:         56
        .size:           2
        .value_kind:     hidden_group_size_z
      - .offset:         58
        .size:           2
        .value_kind:     hidden_remainder_x
      - .offset:         60
        .size:           2
        .value_kind:     hidden_remainder_y
      - .offset:         62
        .size:           2
        .value_kind:     hidden_remainder_z
      - .offset:         80
        .size:           8
        .value_kind:     hidden_global_offset_x
      - .offset:         88
        .size:           8
        .value_kind:     hidden_global_offset_y
      - .offset:         96
        .size:           8
        .value_kind:     hidden_global_offset_z
      - .offset:         104
        .size:           2
        .value_kind:     hidden_grid_dims
    .group_segment_fixed_size: 0
    .kernarg_segment_align: 8
    .kernarg_segment_size: 296
    .language:       OpenCL C
    .language_version:
      - 2
      - 0
    .max_flat_workgroup_size: 1024
    .name:           _ZN4vllm35static_scaled_int8_azp_quant_kernelIN3c108BFloat16EfiEEvPKT_PaPKT0_PKT1_i
    .private_segment_fixed_size: 0
    .sgpr_count:     50
    .sgpr_spill_count: 0
    .symbol:         _ZN4vllm35static_scaled_int8_azp_quant_kernelIN3c108BFloat16EfiEEvPKT_PaPKT0_PKT1_i.kd
    .uniform_work_group_size: 1
    .uses_dynamic_stack: false
    .vgpr_count:     71
    .vgpr_spill_count: 0
    .wavefront_size: 64
  - .agpr_count:     0
    .args:
      - .address_space:  global
        .offset:         0
        .size:           8
        .value_kind:     global_buffer
      - .actual_access:  write_only
        .address_space:  global
        .offset:         8
        .size:           8
        .value_kind:     global_buffer
      - .address_space:  global
        .offset:         16
        .size:           8
        .value_kind:     global_buffer
      - .offset:         24
        .size:           4
        .value_kind:     by_value
      - .offset:         32
        .size:           4
        .value_kind:     hidden_block_count_x
      - .offset:         36
        .size:           4
        .value_kind:     hidden_block_count_y
      - .offset:         40
        .size:           4
        .value_kind:     hidden_block_count_z
      - .offset:         44
        .size:           2
        .value_kind:     hidden_group_size_x
      - .offset:         46
        .size:           2
        .value_kind:     hidden_group_size_y
      - .offset:         48
        .size:           2
        .value_kind:     hidden_group_size_z
      - .offset:         50
        .size:           2
        .value_kind:     hidden_remainder_x
      - .offset:         52
        .size:           2
        .value_kind:     hidden_remainder_y
      - .offset:         54
        .size:           2
        .value_kind:     hidden_remainder_z
      - .offset:         72
        .size:           8
        .value_kind:     hidden_global_offset_x
      - .offset:         80
        .size:           8
        .value_kind:     hidden_global_offset_y
      - .offset:         88
        .size:           8
        .value_kind:     hidden_global_offset_z
      - .offset:         96
        .size:           2
        .value_kind:     hidden_grid_dims
    .group_segment_fixed_size: 20
    .kernarg_segment_align: 8
    .kernarg_segment_size: 288
    .language:       OpenCL C
    .language_version:
      - 2
      - 0
    .max_flat_workgroup_size: 1024
    .name:           _ZN4vllm32dynamic_scaled_int8_quant_kernelIffEEvPKT_PaPT0_i
    .private_segment_fixed_size: 0
    .sgpr_count:     61
    .sgpr_spill_count: 0
    .symbol:         _ZN4vllm32dynamic_scaled_int8_quant_kernelIffEEvPKT_PaPT0_i.kd
    .uniform_work_group_size: 1
    .uses_dynamic_stack: false
    .vgpr_count:     30
    .vgpr_spill_count: 0
    .wavefront_size: 64
  - .agpr_count:     0
    .args:
      - .address_space:  global
        .offset:         0
        .size:           8
        .value_kind:     global_buffer
      - .actual_access:  write_only
        .address_space:  global
        .offset:         8
        .size:           8
        .value_kind:     global_buffer
      - .address_space:  global
        .offset:         16
        .size:           8
        .value_kind:     global_buffer
      - .address_space:  global
        .offset:         24
        .size:           8
        .value_kind:     global_buffer
      - .offset:         32
        .size:           4
        .value_kind:     by_value
      - .offset:         40
        .size:           4
        .value_kind:     hidden_block_count_x
      - .offset:         44
        .size:           4
        .value_kind:     hidden_block_count_y
      - .offset:         48
        .size:           4
        .value_kind:     hidden_block_count_z
      - .offset:         52
        .size:           2
        .value_kind:     hidden_group_size_x
      - .offset:         54
        .size:           2
        .value_kind:     hidden_group_size_y
      - .offset:         56
        .size:           2
        .value_kind:     hidden_group_size_z
      - .offset:         58
        .size:           2
        .value_kind:     hidden_remainder_x
      - .offset:         60
        .size:           2
        .value_kind:     hidden_remainder_y
      - .offset:         62
        .size:           2
        .value_kind:     hidden_remainder_z
      - .offset:         80
        .size:           8
        .value_kind:     hidden_global_offset_x
      - .offset:         88
        .size:           8
        .value_kind:     hidden_global_offset_y
      - .offset:         96
        .size:           8
        .value_kind:     hidden_global_offset_z
      - .offset:         104
        .size:           2
        .value_kind:     hidden_grid_dims
    .group_segment_fixed_size: 40
    .kernarg_segment_align: 8
    .kernarg_segment_size: 296
    .language:       OpenCL C
    .language_version:
      - 2
      - 0
    .max_flat_workgroup_size: 1024
    .name:           _ZN4vllm36dynamic_scaled_int8_azp_quant_kernelIffiEEvPKT_PaPT0_PT1_i
    .private_segment_fixed_size: 0
    .sgpr_count:     100
    .sgpr_spill_count: 0
    .symbol:         _ZN4vllm36dynamic_scaled_int8_azp_quant_kernelIffiEEvPKT_PaPT0_PT1_i.kd
    .uniform_work_group_size: 1
    .uses_dynamic_stack: false
    .vgpr_count:     60
    .vgpr_spill_count: 0
    .wavefront_size: 64
  - .agpr_count:     0
    .args:
      - .address_space:  global
        .offset:         0
        .size:           8
        .value_kind:     global_buffer
      - .actual_access:  write_only
        .address_space:  global
        .offset:         8
        .size:           8
        .value_kind:     global_buffer
      - .address_space:  global
        .offset:         16
        .size:           8
        .value_kind:     global_buffer
      - .offset:         24
        .size:           4
        .value_kind:     by_value
      - .offset:         32
        .size:           4
        .value_kind:     hidden_block_count_x
      - .offset:         36
        .size:           4
        .value_kind:     hidden_block_count_y
      - .offset:         40
        .size:           4
        .value_kind:     hidden_block_count_z
      - .offset:         44
        .size:           2
        .value_kind:     hidden_group_size_x
      - .offset:         46
        .size:           2
        .value_kind:     hidden_group_size_y
      - .offset:         48
        .size:           2
        .value_kind:     hidden_group_size_z
      - .offset:         50
        .size:           2
        .value_kind:     hidden_remainder_x
      - .offset:         52
        .size:           2
        .value_kind:     hidden_remainder_y
      - .offset:         54
        .size:           2
        .value_kind:     hidden_remainder_z
      - .offset:         72
        .size:           8
        .value_kind:     hidden_global_offset_x
      - .offset:         80
        .size:           8
        .value_kind:     hidden_global_offset_y
      - .offset:         88
        .size:           8
        .value_kind:     hidden_global_offset_z
      - .offset:         96
        .size:           2
        .value_kind:     hidden_grid_dims
    .group_segment_fixed_size: 20
    .kernarg_segment_align: 8
    .kernarg_segment_size: 288
    .language:       OpenCL C
    .language_version:
      - 2
      - 0
    .max_flat_workgroup_size: 1024
    .name:           _ZN4vllm32dynamic_scaled_int8_quant_kernelIN3c104HalfEfEEvPKT_PaPT0_i
    .private_segment_fixed_size: 0
    .sgpr_count:     61
    .sgpr_spill_count: 0
    .symbol:         _ZN4vllm32dynamic_scaled_int8_quant_kernelIN3c104HalfEfEEvPKT_PaPT0_i.kd
    .uniform_work_group_size: 1
    .uses_dynamic_stack: false
    .vgpr_count:     30
    .vgpr_spill_count: 0
    .wavefront_size: 64
  - .agpr_count:     0
    .args:
      - .address_space:  global
        .offset:         0
        .size:           8
        .value_kind:     global_buffer
      - .actual_access:  write_only
        .address_space:  global
        .offset:         8
        .size:           8
        .value_kind:     global_buffer
      - .address_space:  global
        .offset:         16
        .size:           8
        .value_kind:     global_buffer
      - .address_space:  global
        .offset:         24
        .size:           8
        .value_kind:     global_buffer
      - .offset:         32
        .size:           4
        .value_kind:     by_value
      - .offset:         40
        .size:           4
        .value_kind:     hidden_block_count_x
      - .offset:         44
        .size:           4
        .value_kind:     hidden_block_count_y
      - .offset:         48
        .size:           4
        .value_kind:     hidden_block_count_z
      - .offset:         52
        .size:           2
        .value_kind:     hidden_group_size_x
      - .offset:         54
        .size:           2
        .value_kind:     hidden_group_size_y
      - .offset:         56
        .size:           2
        .value_kind:     hidden_group_size_z
      - .offset:         58
        .size:           2
        .value_kind:     hidden_remainder_x
      - .offset:         60
        .size:           2
        .value_kind:     hidden_remainder_y
      - .offset:         62
        .size:           2
        .value_kind:     hidden_remainder_z
      - .offset:         80
        .size:           8
        .value_kind:     hidden_global_offset_x
      - .offset:         88
        .size:           8
        .value_kind:     hidden_global_offset_y
      - .offset:         96
        .size:           8
        .value_kind:     hidden_global_offset_z
      - .offset:         104
        .size:           2
        .value_kind:     hidden_grid_dims
    .group_segment_fixed_size: 40
    .kernarg_segment_align: 8
    .kernarg_segment_size: 296
    .language:       OpenCL C
    .language_version:
      - 2
      - 0
    .max_flat_workgroup_size: 1024
    .name:           _ZN4vllm36dynamic_scaled_int8_azp_quant_kernelIN3c104HalfEfiEEvPKT_PaPT0_PT1_i
    .private_segment_fixed_size: 0
    .sgpr_count:     46
    .sgpr_spill_count: 0
    .symbol:         _ZN4vllm36dynamic_scaled_int8_azp_quant_kernelIN3c104HalfEfiEEvPKT_PaPT0_PT1_i.kd
    .uniform_work_group_size: 1
    .uses_dynamic_stack: false
    .vgpr_count:     73
    .vgpr_spill_count: 0
    .wavefront_size: 64
  - .agpr_count:     0
    .args:
      - .address_space:  global
        .offset:         0
        .size:           8
        .value_kind:     global_buffer
      - .actual_access:  write_only
        .address_space:  global
        .offset:         8
        .size:           8
        .value_kind:     global_buffer
      - .address_space:  global
        .offset:         16
        .size:           8
        .value_kind:     global_buffer
      - .offset:         24
        .size:           4
        .value_kind:     by_value
      - .offset:         32
        .size:           4
        .value_kind:     hidden_block_count_x
      - .offset:         36
        .size:           4
        .value_kind:     hidden_block_count_y
      - .offset:         40
        .size:           4
        .value_kind:     hidden_block_count_z
      - .offset:         44
        .size:           2
        .value_kind:     hidden_group_size_x
      - .offset:         46
        .size:           2
        .value_kind:     hidden_group_size_y
      - .offset:         48
        .size:           2
        .value_kind:     hidden_group_size_z
      - .offset:         50
        .size:           2
        .value_kind:     hidden_remainder_x
      - .offset:         52
        .size:           2
        .value_kind:     hidden_remainder_y
      - .offset:         54
        .size:           2
        .value_kind:     hidden_remainder_z
      - .offset:         72
        .size:           8
        .value_kind:     hidden_global_offset_x
      - .offset:         80
        .size:           8
        .value_kind:     hidden_global_offset_y
      - .offset:         88
        .size:           8
        .value_kind:     hidden_global_offset_z
      - .offset:         96
        .size:           2
        .value_kind:     hidden_grid_dims
    .group_segment_fixed_size: 20
    .kernarg_segment_align: 8
    .kernarg_segment_size: 288
    .language:       OpenCL C
    .language_version:
      - 2
      - 0
    .max_flat_workgroup_size: 1024
    .name:           _ZN4vllm32dynamic_scaled_int8_quant_kernelIN3c108BFloat16EfEEvPKT_PaPT0_i
    .private_segment_fixed_size: 0
    .sgpr_count:     61
    .sgpr_spill_count: 0
    .symbol:         _ZN4vllm32dynamic_scaled_int8_quant_kernelIN3c108BFloat16EfEEvPKT_PaPT0_i.kd
    .uniform_work_group_size: 1
    .uses_dynamic_stack: false
    .vgpr_count:     40
    .vgpr_spill_count: 0
    .wavefront_size: 64
  - .agpr_count:     0
    .args:
      - .address_space:  global
        .offset:         0
        .size:           8
        .value_kind:     global_buffer
      - .actual_access:  write_only
        .address_space:  global
        .offset:         8
        .size:           8
        .value_kind:     global_buffer
      - .address_space:  global
        .offset:         16
        .size:           8
        .value_kind:     global_buffer
      - .address_space:  global
        .offset:         24
        .size:           8
        .value_kind:     global_buffer
      - .offset:         32
        .size:           4
        .value_kind:     by_value
      - .offset:         40
        .size:           4
        .value_kind:     hidden_block_count_x
      - .offset:         44
        .size:           4
        .value_kind:     hidden_block_count_y
      - .offset:         48
        .size:           4
        .value_kind:     hidden_block_count_z
      - .offset:         52
        .size:           2
        .value_kind:     hidden_group_size_x
      - .offset:         54
        .size:           2
        .value_kind:     hidden_group_size_y
      - .offset:         56
        .size:           2
        .value_kind:     hidden_group_size_z
      - .offset:         58
        .size:           2
        .value_kind:     hidden_remainder_x
      - .offset:         60
        .size:           2
        .value_kind:     hidden_remainder_y
      - .offset:         62
        .size:           2
        .value_kind:     hidden_remainder_z
      - .offset:         80
        .size:           8
        .value_kind:     hidden_global_offset_x
      - .offset:         88
        .size:           8
        .value_kind:     hidden_global_offset_y
      - .offset:         96
        .size:           8
        .value_kind:     hidden_global_offset_z
      - .offset:         104
        .size:           2
        .value_kind:     hidden_grid_dims
    .group_segment_fixed_size: 40
    .kernarg_segment_align: 8
    .kernarg_segment_size: 296
    .language:       OpenCL C
    .language_version:
      - 2
      - 0
    .max_flat_workgroup_size: 1024
    .name:           _ZN4vllm36dynamic_scaled_int8_azp_quant_kernelIN3c108BFloat16EfiEEvPKT_PaPT0_PT1_i
    .private_segment_fixed_size: 0
    .sgpr_count:     46
    .sgpr_spill_count: 0
    .symbol:         _ZN4vllm36dynamic_scaled_int8_azp_quant_kernelIN3c108BFloat16EfiEEvPKT_PaPT0_PT1_i.kd
    .uniform_work_group_size: 1
    .uses_dynamic_stack: false
    .vgpr_count:     73
    .vgpr_spill_count: 0
    .wavefront_size: 64
amdhsa.target:   amdgcn-amd-amdhsa--gfx90a
amdhsa.version:
  - 1
  - 2
...

	.end_amdgpu_metadata
